;; amdgpu-corpus repo=triton-lang/triton kind=triton arch=gfx90a opt=O3 lang=triton
	.amdgcn_target "amdgcn-amd-amdhsa--gfx90a"
	.amdhsa_code_object_version 5
	.text
	.globl	_attn_bwd                       ; -- Begin function _attn_bwd
	.p2align	8
	.type	_attn_bwd,@function
_attn_bwd:                              ; @_attn_bwd
.Lfunc_begin0:
	.cfi_sections .debug_frame
	.cfi_startproc
; %bb.121:
	.file	1 "/root/src/amdgpu-assembly/repos/triton-lang__triton-aot" "attention_bwd.py"
	.loc	1 126 0 prologue_end            ; attention_bwd.py:126:0
	s_load_dwordx2 s[6:7], s[4:5], 0x0
	s_load_dwordx8 s[8:15], s[4:5], 0x8
	s_waitcnt lgkmcnt(0)
	s_branch .LBB0_0
	.loc	1 0 0 is_stmt 0                 ; :0:0
.Ltmp0:
	.p2align	8
; %bb.122:
.LBB0_0:
	s_load_dwordx8 s[48:55], s[4:5], 0x48
.Ltmp1:
	.loc	1 144 55 is_stmt 1              ; attention_bwd.py:144:55
	s_abs_i32 s2, s17
	s_load_dwordx8 s[40:47], s[4:5], 0x28
	v_mov_b32_e32 v125, v0
	.loc	1 165 36                        ; attention_bwd.py:165:36
	v_lshrrev_b32_e32 v129, 6, v125
	.loc	1 144 55                        ; attention_bwd.py:144:55
	s_waitcnt lgkmcnt(0)
	s_abs_i32 s0, s54
	v_cvt_f32_u32_e32 v1, s0
	s_sub_i32 s3, 0, s0
	.loc	1 143 22                        ; attention_bwd.py:143:22
	s_mul_i32 s4, s55, s17
	.loc	1 144 55                        ; attention_bwd.py:144:55
	s_xor_b32 s1, s17, s54
	v_rcp_iflag_f32_e32 v1, v1
	.loc	1 143 32                        ; attention_bwd.py:143:32
	s_ashr_i32 s5, s4, 31
	.loc	1 144 55                        ; attention_bwd.py:144:55
	s_ashr_i32 s1, s1, 31
	.loc	1 165 36                        ; attention_bwd.py:165:36
	v_or_b32_e32 v2, 8, v129
	.loc	1 144 55                        ; attention_bwd.py:144:55
	v_mul_f32_e32 v1, 0x4f7ffffe, v1
	v_cvt_u32_f32_e32 v1, v1
	v_accvgpr_write_b32 a1, v2
	.loc	1 171 16                        ; attention_bwd.py:171:16
	v_and_b32_e32 v26, 48, v125
	.loc	1 165 36                        ; attention_bwd.py:165:36
	v_or_b32_e32 v0, 4, v129
	.loc	1 144 55                        ; attention_bwd.py:144:55
	v_readfirstlane_b32 s13, v1
	s_mul_i32 s3, s3, s13
	s_mul_hi_u32 s3, s13, s3
	s_add_i32 s13, s13, s3
	s_mul_hi_u32 s3, s2, s13
	s_mul_i32 s13, s3, s0
	s_sub_i32 s2, s2, s13
	s_add_i32 s13, s3, 1
	s_sub_i32 s18, s2, s0
	s_cmp_ge_u32 s2, s0
	s_cselect_b32 s3, s13, s3
	s_cselect_b32 s2, s18, s2
	s_add_i32 s13, s3, 1
	s_cmp_ge_u32 s2, s0
	s_cselect_b32 s0, s13, s3
	s_xor_b32 s0, s0, s1
	s_sub_i32 s0, s0, s1
	.loc	1 144 30 is_stmt 0              ; attention_bwd.py:144:30
	s_mul_i32 s1, s0, s54
	s_sub_i32 s1, s17, s1
	.loc	1 144 23                        ; attention_bwd.py:144:23
	s_mul_i32 s1, s1, s51
	.loc	1 144 47                        ; attention_bwd.py:144:47
	s_mul_i32 s0, s0, s50
	.loc	1 144 35                        ; attention_bwd.py:144:35
	s_add_i32 s0, s0, s1
	.loc	1 144 62                        ; attention_bwd.py:144:62
	s_ashr_i32 s1, s0, 31
	.loc	1 149 9 is_stmt 1               ; attention_bwd.py:149:9
	s_lshl_b64 s[50:51], s[0:1], 1
	s_add_u32 s2, s8, s50
	s_addc_u32 s3, s9, s51
	.loc	1 150 9                         ; attention_bwd.py:150:9
	s_add_u32 s0, s10, s50
	s_addc_u32 s1, s11, s51
	.loc	1 155 9                         ; attention_bwd.py:155:9
	s_lshl_b64 s[4:5], s[4:5], 2
	s_add_u32 s57, s46, s4
	s_addc_u32 s58, s47, s5
	.loc	1 156 9                         ; attention_bwd.py:156:9
	s_add_u32 s13, s48, s4
	s_addc_u32 s56, s49, s5
	.loc	1 161 20                        ; attention_bwd.py:161:20
	s_lshl_b32 s33, s16, 7
	.loc	1 165 23                        ; attention_bwd.py:165:23
	v_or_b32_e32 v128, s33, v129
	v_or_b32_e32 v3, s33, v2
	.loc	1 171 38                        ; attention_bwd.py:171:38
	v_mul_lo_u32 v2, s52, v128
	.loc	1 165 36                        ; attention_bwd.py:165:36
	v_or_b32_e32 v5, 16, v129
	.loc	1 171 38                        ; attention_bwd.py:171:38
	v_mul_lo_u32 v18, s52, v3
	.loc	1 171 20 is_stmt 0              ; attention_bwd.py:171:20
	v_ashrrev_i32_e32 v3, 31, v2
.Ltmp2:
	.loc	1 38 36 is_stmt 1               ; attention_bwd.py:38:36 @[ attention_bwd.py:184:50 ]
	v_lshrrev_b32_e32 v152, 2, v26
.Ltmp3:
	.loc	1 165 36                        ; attention_bwd.py:165:36
	v_or_b32_e32 v4, 12, v129
	v_or_b32_e32 v6, 20, v129
	;; [unrolled: 1-line block ×3, first 2 shown]
	.loc	1 165 23 is_stmt 0              ; attention_bwd.py:165:23
	v_or_b32_e32 v1, s33, v0
	v_accvgpr_write_b32 a3, v5
	v_or_b32_e32 v5, s33, v5
	.loc	1 171 20 is_stmt 1              ; attention_bwd.py:171:20
	v_lshlrev_b64 v[176:177], 1, v[2:3]
.Ltmp4:
	.loc	1 50 26                         ; attention_bwd.py:50:26 @[ attention_bwd.py:184:50 ]
	v_or_b32_e32 v100, s33, v152
	v_accvgpr_write_b32 a2, v4
.Ltmp5:
	.loc	1 165 23                        ; attention_bwd.py:165:23
	v_or_b32_e32 v4, s33, v4
	v_accvgpr_write_b32 a4, v6
	v_or_b32_e32 v7, s33, v6
	v_accvgpr_write_b32 a6, v9
	v_or_b32_e32 v9, s33, v9
	.loc	1 171 38                        ; attention_bwd.py:171:38
	v_mul_lo_u32 v6, s52, v1
	v_mul_lo_u32 v14, s52, v5
	.loc	1 171 20 is_stmt 0              ; attention_bwd.py:171:20
	v_mov_b32_e32 v1, s3
	v_add_co_u32_e32 v5, vcc, s2, v176
.Ltmp6:
	.loc	1 38 36 is_stmt 1               ; attention_bwd.py:38:36 @[ attention_bwd.py:184:50 ]
	v_or_b32_e32 v175, 1, v152
	.loc	1 51 24                         ; attention_bwd.py:51:24 @[ attention_bwd.py:184:50 ]
	v_ashrrev_i32_e32 v3, 31, v100
	v_mov_b32_e32 v2, v100
.Ltmp7:
	.loc	1 171 38                        ; attention_bwd.py:171:38
	v_mul_lo_u32 v16, s52, v4
	v_mul_lo_u32 v12, s52, v7
	;; [unrolled: 1-line block ×3, first 2 shown]
	.loc	1 171 20 is_stmt 0              ; attention_bwd.py:171:20
	v_addc_co_u32_e32 v9, vcc, v1, v177, vcc
	v_ashrrev_i32_e32 v7, 31, v6
.Ltmp8:
	.loc	1 50 26 is_stmt 1               ; attention_bwd.py:50:26 @[ attention_bwd.py:184:50 ]
	v_or_b32_e32 v101, s33, v175
	.loc	1 51 24                         ; attention_bwd.py:51:24 @[ attention_bwd.py:184:50 ]
	v_lshlrev_b64 v[20:21], 2, v[2:3]
.Ltmp9:
	.loc	1 171 20                        ; attention_bwd.py:171:20
	v_lshlrev_b64 v[178:179], 1, v[6:7]
.Ltmp10:
	.loc	1 38 36                         ; attention_bwd.py:38:36 @[ attention_bwd.py:184:50 ]
	v_or_b32_e32 v174, 2, v152
	.loc	1 51 24                         ; attention_bwd.py:51:24 @[ attention_bwd.py:184:50 ]
	v_mov_b32_e32 v1, s58
	v_add_co_u32_e32 v2, vcc, s57, v20
	v_ashrrev_i32_e32 v7, 31, v101
	v_mov_b32_e32 v6, v101
	.loc	1 50 26                         ; attention_bwd.py:50:26 @[ attention_bwd.py:184:50 ]
	v_or_b32_e32 v98, s33, v174
	.loc	1 51 24                         ; attention_bwd.py:51:24 @[ attention_bwd.py:184:50 ]
	v_addc_co_u32_e32 v3, vcc, v1, v21, vcc
	v_lshlrev_b64 v[22:23], 2, v[6:7]
	v_add_co_u32_e32 v6, vcc, s57, v22
	v_ashrrev_i32_e32 v11, 31, v98
	v_mov_b32_e32 v10, v98
	v_addc_co_u32_e32 v7, vcc, v1, v23, vcc
	v_lshlrev_b64 v[24:25], 2, v[10:11]
	v_add_co_u32_e32 v10, vcc, s57, v24
	v_addc_co_u32_e32 v11, vcc, v1, v25, vcc
.Ltmp11:
	.loc	1 171 58                        ; attention_bwd.py:171:58
	v_and_b32_e32 v1, 63, v125
	.loc	1 171 69 is_stmt 0              ; attention_bwd.py:171:69
	v_mul_lo_u32 v28, s53, v1
	.loc	1 171 51                        ; attention_bwd.py:171:51
	v_ashrrev_i32_e32 v29, 31, v28
	v_lshlrev_b64 v[126:127], 1, v[28:29]
	v_add_co_u32_e32 v28, vcc, v5, v126
	v_addc_co_u32_e32 v29, vcc, v9, v127, vcc
	.loc	1 171 20                        ; attention_bwd.py:171:20
	v_mov_b32_e32 v1, s3
	v_add_co_u32_e32 v5, vcc, s2, v178
	v_addc_co_u32_e32 v1, vcc, v1, v179, vcc
	v_ashrrev_i32_e32 v19, 31, v18
	v_lshlrev_b64 v[68:69], 1, v[18:19]
	.loc	1 171 51                        ; attention_bwd.py:171:51
	v_add_co_u32_e32 v18, vcc, v5, v126
	v_addc_co_u32_e32 v19, vcc, v1, v127, vcc
	.loc	1 171 20                        ; attention_bwd.py:171:20
	v_mov_b32_e32 v1, s3
	v_add_co_u32_e32 v5, vcc, s2, v68
	v_addc_co_u32_e32 v1, vcc, v1, v69, vcc
	v_ashrrev_i32_e32 v17, 31, v16
	v_lshlrev_b64 v[72:73], 1, v[16:17]
	.loc	1 171 51                        ; attention_bwd.py:171:51
	;; [unrolled: 9-line block ×3, first 2 shown]
	v_add_co_u32_e32 v14, vcc, v5, v126
	v_addc_co_u32_e32 v15, vcc, v1, v127, vcc
	.loc	1 171 20                        ; attention_bwd.py:171:20
	v_mov_b32_e32 v1, s3
	v_add_co_u32_e32 v5, vcc, s2, v186
	v_addc_co_u32_e32 v1, vcc, v1, v187, vcc
	v_ashrrev_i32_e32 v13, 31, v12
	.loc	1 165 36 is_stmt 1              ; attention_bwd.py:165:36
	v_or_b32_e32 v8, 24, v129
	.loc	1 171 20                        ; attention_bwd.py:171:20
	v_lshlrev_b64 v[58:59], 1, v[12:13]
	.loc	1 171 51 is_stmt 0              ; attention_bwd.py:171:51
	v_add_co_u32_e32 v12, vcc, v5, v126
	v_accvgpr_write_b32 a5, v8
	.loc	1 165 23 is_stmt 1              ; attention_bwd.py:165:23
	v_or_b32_e32 v8, s33, v8
	.loc	1 171 51                        ; attention_bwd.py:171:51
	v_addc_co_u32_e32 v13, vcc, v1, v127, vcc
	.loc	1 171 38 is_stmt 0              ; attention_bwd.py:171:38
	v_mul_lo_u32 v8, s52, v8
	.loc	1 171 20                        ; attention_bwd.py:171:20
	v_mov_b32_e32 v1, s3
	v_add_co_u32_e32 v5, vcc, s2, v58
	v_addc_co_u32_e32 v1, vcc, v1, v59, vcc
	v_ashrrev_i32_e32 v9, 31, v8
	v_lshlrev_b64 v[60:61], 1, v[8:9]
	.loc	1 171 51                        ; attention_bwd.py:171:51
	v_add_co_u32_e32 v8, vcc, v5, v126
	v_addc_co_u32_e32 v9, vcc, v1, v127, vcc
	.loc	1 171 20                        ; attention_bwd.py:171:20
	v_mov_b32_e32 v1, s3
	v_add_co_u32_e32 v27, vcc, s2, v60
	v_addc_co_u32_e32 v1, vcc, v1, v61, vcc
	v_ashrrev_i32_e32 v5, 31, v4
	v_lshlrev_b64 v[62:63], 1, v[4:5]
	.loc	1 171 51                        ; attention_bwd.py:171:51
	v_add_co_u32_e32 v4, vcc, v27, v126
	v_addc_co_u32_e32 v5, vcc, v1, v127, vcc
	.loc	1 171 20                        ; attention_bwd.py:171:20
	v_mov_b32_e32 v1, s3
	v_add_co_u32_e32 v27, vcc, s2, v62
	v_addc_co_u32_e32 v1, vcc, v1, v63, vcc
	.loc	1 171 51                        ; attention_bwd.py:171:51
	v_add_co_u32_e32 v30, vcc, v27, v126
	v_addc_co_u32_e32 v31, vcc, v1, v127, vcc
	.loc	1 165 23 is_stmt 1              ; attention_bwd.py:165:23
	v_or_b32_e32 v1, 32, v128
	v_accvgpr_write_b32 a0, v0
	.loc	1 171 16                        ; attention_bwd.py:171:16
	global_load_ushort v0, v[28:29], off
	global_load_ushort v32, v[18:19], off
	;; [unrolled: 1-line block ×8, first 2 shown]
	.loc	1 171 38 is_stmt 0              ; attention_bwd.py:171:38
	v_mul_lo_u32 v4, s52, v1
	.loc	1 171 20                        ; attention_bwd.py:171:20
	v_ashrrev_i32_e32 v5, 31, v4
	v_lshlrev_b64 v[64:65], 1, v[4:5]
	v_mov_b32_e32 v1, s3
	v_add_co_u32_e32 v4, vcc, s2, v64
	v_addc_co_u32_e32 v1, vcc, v1, v65, vcc
	.loc	1 171 51                        ; attention_bwd.py:171:51
	v_add_co_u32_e32 v4, vcc, v4, v126
	v_addc_co_u32_e32 v5, vcc, v1, v127, vcc
	.loc	1 165 23 is_stmt 1              ; attention_bwd.py:165:23
	v_or_b32_e32 v1, 36, v128
	.loc	1 171 38                        ; attention_bwd.py:171:38
	v_mul_lo_u32 v8, s52, v1
	.loc	1 171 20 is_stmt 0              ; attention_bwd.py:171:20
	v_ashrrev_i32_e32 v9, 31, v8
	v_lshlrev_b64 v[66:67], 1, v[8:9]
	v_mov_b32_e32 v1, s3
	v_add_co_u32_e32 v8, vcc, s2, v66
	v_addc_co_u32_e32 v1, vcc, v1, v67, vcc
	.loc	1 171 51                        ; attention_bwd.py:171:51
	v_add_co_u32_e32 v8, vcc, v8, v126
	v_addc_co_u32_e32 v9, vcc, v1, v127, vcc
	.loc	1 165 23 is_stmt 1              ; attention_bwd.py:165:23
	v_or_b32_e32 v1, 40, v128
	.loc	1 171 38                        ; attention_bwd.py:171:38
	v_mul_lo_u32 v12, s52, v1
	.loc	1 171 20 is_stmt 0              ; attention_bwd.py:171:20
	;; [unrolled: 13-line block ×7, first 2 shown]
	v_ashrrev_i32_e32 v31, 31, v30
	v_lshlrev_b64 v[82:83], 1, v[30:31]
	v_mov_b32_e32 v1, s3
	v_add_co_u32_e32 v27, vcc, s2, v82
	v_addc_co_u32_e32 v1, vcc, v1, v83, vcc
	.loc	1 171 51                        ; attention_bwd.py:171:51
	v_add_co_u32_e32 v30, vcc, v27, v126
	v_addc_co_u32_e32 v31, vcc, v1, v127, vcc
	.loc	1 165 23 is_stmt 1              ; attention_bwd.py:165:23
	v_or_b32_e32 v1, 64, v128
	.loc	1 171 16                        ; attention_bwd.py:171:16
	global_load_ushort v39, v[4:5], off
	global_load_ushort v40, v[8:9], off
	;; [unrolled: 1-line block ×8, first 2 shown]
	.loc	1 171 38 is_stmt 0              ; attention_bwd.py:171:38
	v_mul_lo_u32 v4, s52, v1
	.loc	1 171 20                        ; attention_bwd.py:171:20
	v_ashrrev_i32_e32 v5, 31, v4
	v_lshlrev_b64 v[88:89], 1, v[4:5]
	v_mov_b32_e32 v1, s3
	v_add_co_u32_e32 v4, vcc, s2, v88
	v_addc_co_u32_e32 v1, vcc, v1, v89, vcc
	.loc	1 171 51                        ; attention_bwd.py:171:51
	v_add_co_u32_e32 v4, vcc, v4, v126
	v_addc_co_u32_e32 v5, vcc, v1, v127, vcc
	.loc	1 165 23 is_stmt 1              ; attention_bwd.py:165:23
	v_or_b32_e32 v1, 0x44, v128
	.loc	1 171 38                        ; attention_bwd.py:171:38
	v_mul_lo_u32 v8, s52, v1
	.loc	1 171 20 is_stmt 0              ; attention_bwd.py:171:20
	v_ashrrev_i32_e32 v9, 31, v8
	v_lshlrev_b64 v[90:91], 1, v[8:9]
	v_mov_b32_e32 v1, s3
	v_add_co_u32_e32 v8, vcc, s2, v90
	v_addc_co_u32_e32 v1, vcc, v1, v91, vcc
	.loc	1 171 51                        ; attention_bwd.py:171:51
	v_add_co_u32_e32 v8, vcc, v8, v126
	v_addc_co_u32_e32 v9, vcc, v1, v127, vcc
	.loc	1 165 23 is_stmt 1              ; attention_bwd.py:165:23
	v_or_b32_e32 v1, 0x48, v128
	.loc	1 171 38                        ; attention_bwd.py:171:38
	v_mul_lo_u32 v12, s52, v1
	.loc	1 171 20 is_stmt 0              ; attention_bwd.py:171:20
	;; [unrolled: 13-line block ×7, first 2 shown]
	v_ashrrev_i32_e32 v31, 31, v30
	v_lshlrev_b64 v[106:107], 1, v[30:31]
	v_mov_b32_e32 v1, s3
	v_add_co_u32_e32 v27, vcc, s2, v106
	v_addc_co_u32_e32 v1, vcc, v1, v107, vcc
	.loc	1 171 51                        ; attention_bwd.py:171:51
	v_add_co_u32_e32 v30, vcc, v27, v126
	v_addc_co_u32_e32 v31, vcc, v1, v127, vcc
	.loc	1 165 23 is_stmt 1              ; attention_bwd.py:165:23
	v_or_b32_e32 v1, 0x60, v128
	.loc	1 171 16                        ; attention_bwd.py:171:16
	global_load_ushort v27, v[4:5], off
	global_load_ushort v47, v[8:9], off
	;; [unrolled: 1-line block ×8, first 2 shown]
	.loc	1 171 38 is_stmt 0              ; attention_bwd.py:171:38
	v_mul_lo_u32 v4, s52, v1
	.loc	1 171 20                        ; attention_bwd.py:171:20
	v_ashrrev_i32_e32 v5, 31, v4
	v_lshlrev_b64 v[108:109], 1, v[4:5]
	v_mov_b32_e32 v1, s3
	v_add_co_u32_e32 v4, vcc, s2, v108
	v_addc_co_u32_e32 v1, vcc, v1, v109, vcc
	.loc	1 171 51                        ; attention_bwd.py:171:51
	v_add_co_u32_e32 v4, vcc, v4, v126
	v_addc_co_u32_e32 v5, vcc, v1, v127, vcc
	.loc	1 165 23 is_stmt 1              ; attention_bwd.py:165:23
	v_or_b32_e32 v1, 0x64, v128
	.loc	1 171 38                        ; attention_bwd.py:171:38
	v_mul_lo_u32 v8, s52, v1
	.loc	1 171 20 is_stmt 0              ; attention_bwd.py:171:20
	v_ashrrev_i32_e32 v9, 31, v8
	v_lshlrev_b64 v[110:111], 1, v[8:9]
	v_mov_b32_e32 v1, s3
	v_add_co_u32_e32 v8, vcc, s2, v110
	v_addc_co_u32_e32 v1, vcc, v1, v111, vcc
	.loc	1 171 51                        ; attention_bwd.py:171:51
	v_add_co_u32_e32 v8, vcc, v8, v126
	v_addc_co_u32_e32 v9, vcc, v1, v127, vcc
	.loc	1 165 23 is_stmt 1              ; attention_bwd.py:165:23
	v_or_b32_e32 v1, 0x68, v128
	.loc	1 171 38                        ; attention_bwd.py:171:38
	v_mul_lo_u32 v12, s52, v1
	.loc	1 171 20 is_stmt 0              ; attention_bwd.py:171:20
	;; [unrolled: 13-line block ×5, first 2 shown]
	v_ashrrev_i32_e32 v19, 31, v18
	v_lshlrev_b64 v[118:119], 1, v[18:19]
	v_mov_b32_e32 v1, s3
	v_add_co_u32_e32 v18, vcc, s2, v118
	v_addc_co_u32_e32 v1, vcc, v1, v119, vcc
	.loc	1 171 51                        ; attention_bwd.py:171:51
	v_add_co_u32_e32 v18, vcc, v18, v126
	v_addc_co_u32_e32 v19, vcc, v1, v127, vcc
	.loc	1 171 16                        ; attention_bwd.py:171:16
	global_load_ushort v28, v[4:5], off
	global_load_ushort v29, v[8:9], off
	;; [unrolled: 1-line block ×4, first 2 shown]
	.loc	1 165 23 is_stmt 1              ; attention_bwd.py:165:23
	v_or_b32_e32 v1, 0x78, v128
	.loc	1 171 38                        ; attention_bwd.py:171:38
	v_mul_lo_u32 v4, s52, v1
	.loc	1 171 20 is_stmt 0              ; attention_bwd.py:171:20
	v_ashrrev_i32_e32 v5, 31, v4
	v_lshlrev_b64 v[120:121], 1, v[4:5]
	v_mov_b32_e32 v1, s3
	v_add_co_u32_e32 v4, vcc, s2, v120
	v_addc_co_u32_e32 v1, vcc, v1, v121, vcc
	.loc	1 171 51                        ; attention_bwd.py:171:51
	v_add_co_u32_e32 v4, vcc, v4, v126
	v_addc_co_u32_e32 v5, vcc, v1, v127, vcc
	.loc	1 165 23 is_stmt 1              ; attention_bwd.py:165:23
	v_or_b32_e32 v1, 0x7c, v128
	.loc	1 171 16                        ; attention_bwd.py:171:16
	global_load_ushort v54, v[12:13], off
	global_load_ushort v55, v[4:5], off
	.loc	1 171 38 is_stmt 0              ; attention_bwd.py:171:38
	v_mul_lo_u32 v4, s52, v1
	.loc	1 171 20                        ; attention_bwd.py:171:20
	v_ashrrev_i32_e32 v5, 31, v4
	v_lshlrev_b64 v[122:123], 1, v[4:5]
	v_mov_b32_e32 v1, s3
	v_add_co_u32_e32 v4, vcc, s2, v122
	v_addc_co_u32_e32 v1, vcc, v1, v123, vcc
	.loc	1 171 51                        ; attention_bwd.py:171:51
	v_add_co_u32_e32 v4, vcc, v4, v126
	v_addc_co_u32_e32 v5, vcc, v1, v127, vcc
	.loc	1 171 16                        ; attention_bwd.py:171:16
	global_load_ushort v56, v[14:15], off
	global_load_ushort v57, v[4:5], off
.Ltmp12:
	.loc	1 38 36 is_stmt 1               ; attention_bwd.py:38:36 @[ attention_bwd.py:184:50 ]
	v_or_b32_e32 v153, 3, v152
	.loc	1 50 26                         ; attention_bwd.py:50:26 @[ attention_bwd.py:184:50 ]
	v_or_b32_e32 v99, s33, v153
	.loc	1 51 24                         ; attention_bwd.py:51:24 @[ attention_bwd.py:184:50 ]
	v_ashrrev_i32_e32 v5, 31, v99
	v_mov_b32_e32 v4, v99
	v_lshlrev_b64 v[16:17], 2, v[4:5]
	v_mov_b32_e32 v1, s58
	v_add_co_u32_e32 v4, vcc, s57, v16
	v_addc_co_u32_e32 v5, vcc, v1, v17, vcc
	.loc	1 64 25                         ; attention_bwd.py:64:25 @[ attention_bwd.py:184:50 ]
	v_mov_b32_e32 v1, s56
	v_add_co_u32_e32 v8, vcc, s13, v20
	v_addc_co_u32_e32 v9, vcc, v1, v21, vcc
	v_add_co_u32_e32 v12, vcc, s13, v22
	v_addc_co_u32_e32 v13, vcc, v1, v23, vcc
	;; [unrolled: 2-line block ×4, first 2 shown]
.Ltmp13:
	.loc	1 172 20                        ; attention_bwd.py:172:20
	v_mov_b32_e32 v1, s1
	v_add_co_u32_e32 v18, vcc, s0, v176
	v_addc_co_u32_e32 v1, vcc, v1, v177, vcc
	.loc	1 172 51 is_stmt 0              ; attention_bwd.py:172:51
	v_add_co_u32_e32 v18, vcc, v18, v126
	.loc	1 165 36 is_stmt 1              ; attention_bwd.py:165:36
	v_and_b32_e32 v183, 0xc0, v125
	.loc	1 172 51                        ; attention_bwd.py:172:51
	v_addc_co_u32_e32 v19, vcc, v1, v127, vcc
	.loc	1 171 16                        ; attention_bwd.py:171:16
	v_lshlrev_b32_e32 v137, 1, v125
	v_lshrrev_b32_e32 v1, 3, v183
	v_xor_b32_e32 v20, v137, v1
	v_xor_b32_e32 v1, 32, v20
	v_add_u32_e32 v84, 0, v20
	v_add_u32_e32 v85, 0, v1
	v_xor_b32_e32 v1, 64, v20
	v_xor_b32_e32 v20, 0x60, v20
	v_add_u32_e32 v87, 0, v20
	.loc	1 172 20                        ; attention_bwd.py:172:20
	v_mov_b32_e32 v20, s1
	v_add_co_u32_e32 v21, vcc, s0, v178
	v_addc_co_u32_e32 v22, vcc, v20, v179, vcc
	.loc	1 172 51 is_stmt 0              ; attention_bwd.py:172:51
	v_add_co_u32_e32 v20, vcc, v21, v126
	v_addc_co_u32_e32 v21, vcc, v22, v127, vcc
	.loc	1 172 20                        ; attention_bwd.py:172:20
	v_mov_b32_e32 v22, s1
	v_add_co_u32_e32 v23, vcc, s0, v68
	v_addc_co_u32_e32 v24, vcc, v22, v69, vcc
	.loc	1 172 51                        ; attention_bwd.py:172:51
	v_add_co_u32_e32 v22, vcc, v23, v126
	v_addc_co_u32_e32 v23, vcc, v24, v127, vcc
	.loc	1 172 20                        ; attention_bwd.py:172:20
	v_mov_b32_e32 v24, s1
	v_add_co_u32_e32 v25, vcc, s0, v72
	.loc	1 171 16 is_stmt 1              ; attention_bwd.py:171:16
	s_waitcnt vmcnt(31)
	ds_write_b16 v84, v0
	s_waitcnt vmcnt(27)
	ds_write_b16 v84, v35 offset:2048
	s_waitcnt vmcnt(23)
	ds_write_b16 v84, v39 offset:4096
	;; [unrolled: 2-line block ×7, first 2 shown]
	.loc	1 172 20                        ; attention_bwd.py:172:20
	v_addc_co_u32_e32 v27, vcc, v24, v73, vcc
	.loc	1 172 51 is_stmt 0              ; attention_bwd.py:172:51
	v_add_co_u32_e32 v24, vcc, v25, v126
	v_addc_co_u32_e32 v25, vcc, v27, v127, vcc
	.loc	1 172 20                        ; attention_bwd.py:172:20
	v_mov_b32_e32 v27, s1
	v_add_co_u32_e32 v28, vcc, s0, v186
	v_addc_co_u32_e32 v27, vcc, v27, v187, vcc
	.loc	1 172 51                        ; attention_bwd.py:172:51
	v_add_co_u32_e32 v28, vcc, v28, v126
	.loc	1 171 16 is_stmt 1              ; attention_bwd.py:171:16
	ds_write_b16 v85, v32 offset:512
	ds_write_b16 v85, v36 offset:2560
	;; [unrolled: 1-line block ×7, first 2 shown]
	s_waitcnt vmcnt(4)
	ds_write_b16 v85, v31 offset:14848
	.loc	1 172 51                        ; attention_bwd.py:172:51
	v_addc_co_u32_e32 v29, vcc, v27, v127, vcc
	.loc	1 172 20 is_stmt 0              ; attention_bwd.py:172:20
	v_mov_b32_e32 v27, s1
	v_add_co_u32_e32 v30, vcc, s0, v58
	v_addc_co_u32_e32 v27, vcc, v27, v59, vcc
	.loc	1 172 51                        ; attention_bwd.py:172:51
	v_add_co_u32_e32 v30, vcc, v30, v126
	v_addc_co_u32_e32 v31, vcc, v27, v127, vcc
	.loc	1 172 20                        ; attention_bwd.py:172:20
	v_mov_b32_e32 v27, s1
	v_add_co_u32_e32 v32, vcc, s0, v60
	v_addc_co_u32_e32 v27, vcc, v27, v61, vcc
	.loc	1 171 16 is_stmt 1              ; attention_bwd.py:171:16
	v_add_u32_e32 v86, 0, v1
	.loc	1 172 51                        ; attention_bwd.py:172:51
	v_add_co_u32_e32 v32, vcc, v32, v126
	.loc	1 171 16                        ; attention_bwd.py:171:16
	ds_write_b16 v86, v33 offset:1024
	ds_write_b16 v86, v37 offset:3072
	;; [unrolled: 1-line block ×6, first 2 shown]
	s_waitcnt vmcnt(3)
	ds_write_b16 v86, v54 offset:13312
	s_waitcnt vmcnt(2)
	ds_write_b16 v86, v55 offset:15360
	.loc	1 172 51                        ; attention_bwd.py:172:51
	v_addc_co_u32_e32 v33, vcc, v27, v127, vcc
	.loc	1 171 16                        ; attention_bwd.py:171:16
	ds_write_b16 v87, v34 offset:1536
	ds_write_b16 v87, v38 offset:3584
	ds_write_b16 v87, v42 offset:5632
	ds_write_b16 v87, v46 offset:7680
	ds_write_b16 v87, v49 offset:9728
	ds_write_b16 v87, v53 offset:11776
	s_waitcnt vmcnt(1)
	ds_write_b16 v87, v56 offset:13824
	s_waitcnt vmcnt(0)
	ds_write_b16 v87, v57 offset:15872
	.loc	1 172 20                        ; attention_bwd.py:172:20
	v_mov_b32_e32 v27, s1
	v_add_co_u32_e32 v34, vcc, s0, v62
	v_addc_co_u32_e32 v27, vcc, v27, v63, vcc
	.loc	1 172 51 is_stmt 0              ; attention_bwd.py:172:51
	v_add_co_u32_e32 v34, vcc, v34, v126
	v_addc_co_u32_e32 v35, vcc, v27, v127, vcc
	.loc	1 171 16 is_stmt 1              ; attention_bwd.py:171:16
	s_waitcnt lgkmcnt(0)
	s_barrier
	.loc	1 172 16                        ; attention_bwd.py:172:16
	global_load_ushort v0, v[18:19], off
	global_load_ushort v1, v[20:21], off
	;; [unrolled: 1-line block ×7, first 2 shown]
                                        ; kill: killed $vgpr22 killed $vgpr23
                                        ; kill: killed $vgpr30 killed $vgpr31
                                        ; kill: killed $vgpr24 killed $vgpr25
                                        ; kill: killed $vgpr20 killed $vgpr21
                                        ; kill: killed $vgpr32 killed $vgpr33
                                        ; kill: killed $vgpr28 killed $vgpr29
	global_load_ushort v41, v[34:35], off
	.loc	1 172 20 is_stmt 0              ; attention_bwd.py:172:20
	v_mov_b32_e32 v18, s1
	v_add_co_u32_e32 v19, vcc, s0, v64
	v_addc_co_u32_e32 v20, vcc, v18, v65, vcc
	.loc	1 172 51                        ; attention_bwd.py:172:51
	v_add_co_u32_e32 v18, vcc, v19, v126
	v_addc_co_u32_e32 v19, vcc, v20, v127, vcc
	.loc	1 172 20                        ; attention_bwd.py:172:20
	v_mov_b32_e32 v20, s1
	v_add_co_u32_e32 v21, vcc, s0, v66
	v_addc_co_u32_e32 v22, vcc, v20, v67, vcc
	.loc	1 172 51                        ; attention_bwd.py:172:51
	v_add_co_u32_e32 v20, vcc, v21, v126
	v_addc_co_u32_e32 v21, vcc, v22, v127, vcc
	.loc	1 172 20                        ; attention_bwd.py:172:20
	;; [unrolled: 7-line block ×8, first 2 shown]
	global_load_ushort v42, v[18:19], off
	global_load_ushort v43, v[20:21], off
	;; [unrolled: 1-line block ×8, first 2 shown]
	.loc	1 172 20                        ; attention_bwd.py:172:20
	v_mov_b32_e32 v18, s1
	v_add_co_u32_e32 v19, vcc, s0, v88
	v_addc_co_u32_e32 v20, vcc, v18, v89, vcc
	.loc	1 172 51                        ; attention_bwd.py:172:51
	v_add_co_u32_e32 v18, vcc, v19, v126
	v_addc_co_u32_e32 v19, vcc, v20, v127, vcc
	.loc	1 172 20                        ; attention_bwd.py:172:20
	v_mov_b32_e32 v20, s1
	v_add_co_u32_e32 v21, vcc, s0, v90
	v_addc_co_u32_e32 v22, vcc, v20, v91, vcc
	.loc	1 172 51                        ; attention_bwd.py:172:51
	v_add_co_u32_e32 v20, vcc, v21, v126
	v_addc_co_u32_e32 v21, vcc, v22, v127, vcc
	;; [unrolled: 7-line block ×8, first 2 shown]
	.loc	1 172 16                        ; attention_bwd.py:172:16
	global_load_ushort v50, v[18:19], off
	global_load_ushort v51, v[20:21], off
	;; [unrolled: 1-line block ×6, first 2 shown]
	s_nop 0
	global_load_ushort v32, v[32:33], off
	s_nop 0
	global_load_ushort v33, v[34:35], off
	.loc	1 172 20                        ; attention_bwd.py:172:20
	v_mov_b32_e32 v18, s1
	v_add_co_u32_e32 v19, vcc, s0, v108
	v_addc_co_u32_e32 v20, vcc, v18, v109, vcc
	.loc	1 172 51                        ; attention_bwd.py:172:51
	v_add_co_u32_e32 v18, vcc, v19, v126
	v_addc_co_u32_e32 v19, vcc, v20, v127, vcc
	.loc	1 172 20                        ; attention_bwd.py:172:20
	v_mov_b32_e32 v20, s1
	v_add_co_u32_e32 v21, vcc, s0, v110
	v_addc_co_u32_e32 v22, vcc, v20, v111, vcc
	.loc	1 172 51                        ; attention_bwd.py:172:51
	v_add_co_u32_e32 v20, vcc, v21, v126
	v_addc_co_u32_e32 v21, vcc, v22, v127, vcc
	;; [unrolled: 7-line block ×6, first 2 shown]
	.loc	1 172 16                        ; attention_bwd.py:172:16
	global_load_ushort v27, v[18:19], off
	s_nop 0
	global_load_ushort v21, v[20:21], off
	s_nop 0
	;; [unrolled: 2-line block ×3, first 2 shown]
	global_load_ushort v29, v[30:31], off
	.loc	1 172 20                        ; attention_bwd.py:172:20
	v_mov_b32_e32 v18, s1
	v_add_co_u32_e32 v19, vcc, s0, v120
	v_addc_co_u32_e32 v20, vcc, v18, v121, vcc
	.loc	1 172 51                        ; attention_bwd.py:172:51
	v_add_co_u32_e32 v18, vcc, v19, v126
	v_addc_co_u32_e32 v19, vcc, v20, v127, vcc
	.loc	1 172 16                        ; attention_bwd.py:172:16
	global_load_ushort v22, v[22:23], off
	s_nop 0
	global_load_ushort v23, v[18:19], off
	.loc	1 172 20                        ; attention_bwd.py:172:20
	v_mov_b32_e32 v18, s1
	v_add_co_u32_e32 v19, vcc, s0, v122
	v_addc_co_u32_e32 v20, vcc, v18, v123, vcc
	.loc	1 172 51                        ; attention_bwd.py:172:51
	v_add_co_u32_e32 v18, vcc, v19, v126
	v_addc_co_u32_e32 v19, vcc, v20, v127, vcc
	.loc	1 172 16                        ; attention_bwd.py:172:16
	global_load_ushort v24, v[24:25], off
	s_nop 0
	global_load_ushort v25, v[18:19], off
	.loc	1 165 36 is_stmt 1              ; attention_bwd.py:165:36
	v_and_b32_e32 v20, 15, v125
	.loc	1 171 58                        ; attention_bwd.py:171:58
	v_and_b32_e32 v255, 32, v125
	.loc	1 171 16 is_stmt 0              ; attention_bwd.py:171:16
	v_lshlrev_b32_e32 v18, 3, v20
	v_lshrrev_b32_e32 v185, 2, v255
	.loc	1 165 36 is_stmt 1              ; attention_bwd.py:165:36
	v_and_b32_e32 v173, 31, v125
	.loc	1 171 16                        ; attention_bwd.py:171:16
	v_xor_b32_e32 v19, v18, v185
	v_lshlrev_b32_e32 v30, 7, v173
	v_lshlrev_b32_e32 v18, 6, v183
	v_or3_b32 v18, v30, v18, v19
	v_accvgpr_write_b32 a155, v19
	v_xor_b32_e32 v19, 16, v18
	v_accvgpr_write_b32 a156, v30
	v_add_u32_e32 v30, 0, v19
	v_xor_b32_e32 v19, 32, v18
	v_add_u32_e32 v31, 0, v19
	v_xor_b32_e32 v19, 48, v18
	;; [unrolled: 2-line block ×4, first 2 shown]
	v_accvgpr_write_b32 a67, v59
	v_add_u32_e32 v35, 0, v18
	v_add_u32_e32 v57, 0, v19
	v_xor_b32_e32 v19, 0x60, v18
	v_xor_b32_e32 v18, 0x70, v18
	v_accvgpr_write_b32 a66, v58
	v_add_u32_e32 v59, 0, v18
	v_lshrrev_b32_e32 v238, 1, v26
	v_mul_u32_u24_e32 v18, 0x88, v20
	v_xor_b32_e32 v18, v18, v238
	v_lshl_or_b32 v18, v183, 5, v18
	v_accvgpr_write_b32 a91, v83
	v_accvgpr_write_b32 a95, v89
	v_add_u32_e32 v58, 0, v19
	v_xor_b32_e32 v19, 32, v18
	v_accvgpr_write_b32 a77, v69
	v_accvgpr_write_b32 a81, v73
	;; [unrolled: 1-line block ×13, first 2 shown]
	v_add_u32_e32 v83, 0, v19
	v_xor_b32_e32 v19, 64, v18
	v_add_u32_e32 v88, 0, v18
	v_xor_b32_e32 v18, 0x60, v18
	v_accvgpr_write_b32 a76, v68
	v_accvgpr_write_b32 a80, v72
	;; [unrolled: 1-line block ×11, first 2 shown]
	ds_read_b64 a[46:47], v35
	ds_read_b64 a[44:45], v30
	;; [unrolled: 1-line block ×8, first 2 shown]
	v_add_u32_e32 v94, 0, v19
	v_add_u32_e32 v102, 0, v18
	ds_read2st64_b64 v[78:81], v88 offset1:16
	ds_read2st64_b64 v[74:77], v83 offset1:16
	;; [unrolled: 1-line block ×4, first 2 shown]
	.loc	1 172 16                        ; attention_bwd.py:172:16
	s_waitcnt lgkmcnt(0)
	s_barrier
	s_waitcnt vmcnt(31)
	ds_write_b16 v84, v0
	s_waitcnt vmcnt(27)
	ds_write_b16 v84, v38 offset:2048
	s_waitcnt vmcnt(23)
	ds_write_b16 v84, v42 offset:4096
	;; [unrolled: 2-line block ×7, first 2 shown]
	ds_write_b16 v85, v1 offset:512
	ds_write_b16 v85, v39 offset:2560
	;; [unrolled: 1-line block ×7, first 2 shown]
	s_waitcnt vmcnt(4)
	ds_write_b16 v85, v29 offset:14848
	ds_write_b16 v86, v36 offset:1024
	;; [unrolled: 1-line block ×7, first 2 shown]
	s_waitcnt vmcnt(3)
	ds_write_b16 v86, v22 offset:13312
	s_waitcnt vmcnt(2)
	ds_write_b16 v86, v23 offset:15360
	ds_write_b16 v87, v37 offset:1536
	;; [unrolled: 1-line block ×7, first 2 shown]
	s_waitcnt vmcnt(1)
	ds_write_b16 v87, v24 offset:13824
	s_waitcnt vmcnt(0)
	ds_write_b16 v87, v25 offset:15872
	s_waitcnt lgkmcnt(0)
	s_barrier
.Ltmp14:
	.loc	1 64 21                         ; attention_bwd.py:64:21 @[ attention_bwd.py:184:50 ]
	global_load_dword v212, v[8:9], off
	global_load_dword v213, v[12:13], off
	global_load_dword v210, v[14:15], off
	global_load_dword v211, v[16:17], off
	.loc	1 51 20                         ; attention_bwd.py:51:20 @[ attention_bwd.py:184:50 ]
	global_load_dword v136, v[2:3], off
	global_load_dword v135, v[6:7], off
	;; [unrolled: 1-line block ×4, first 2 shown]
	v_and_b32_e32 v21, 12, v125
	v_lshlrev_b32_e32 v22, 1, v21
	v_lshlrev_b32_e32 v8, 5, v173
	;; [unrolled: 1-line block ×3, first 2 shown]
	v_xor_b32_e32 v12, v22, v185
	v_or3_b32 v156, v8, v9, v12
	.loc	1 41 56                         ; attention_bwd.py:41:56 @[ attention_bwd.py:184:50 ]
	v_lshrrev_b32_e32 v8, 4, v125
	v_or_b32_e32 v16, 48, v8
	.loc	1 47 25                         ; attention_bwd.py:47:25 @[ attention_bwd.py:184:50 ]
	v_or_b32_e32 v18, s33, v20
	.loc	1 41 67                         ; attention_bwd.py:41:67 @[ attention_bwd.py:184:50 ]
	v_mul_lo_u32 v16, s53, v16
	.loc	1 47 25                         ; attention_bwd.py:47:25 @[ attention_bwd.py:184:50 ]
	v_mul_lo_u32 v18, s52, v18
	.loc	1 41 67                         ; attention_bwd.py:41:67 @[ attention_bwd.py:184:50 ]
	s_lshl_b32 s59, s53, 5
	v_mul_lo_u32 v8, s53, v8
	.loc	1 41 49 is_stmt 0               ; attention_bwd.py:41:49 @[ attention_bwd.py:184:50 ]
	v_ashrrev_i32_e32 v17, 31, v16
	.loc	1 47 25 is_stmt 1               ; attention_bwd.py:47:25 @[ attention_bwd.py:184:50 ]
	v_ashrrev_i32_e32 v19, 31, v18
	.loc	1 41 67                         ; attention_bwd.py:41:67 @[ attention_bwd.py:184:50 ]
	v_add_u32_e32 v14, s59, v8
	.loc	1 47 25                         ; attention_bwd.py:47:25 @[ attention_bwd.py:184:50 ]
	v_lshlrev_b64 v[16:17], 1, v[16:17]
	v_lshlrev_b64 v[18:19], 1, v[18:19]
	.loc	1 41 67                         ; attention_bwd.py:41:67 @[ attention_bwd.py:184:50 ]
	s_lshl_b32 s60, s53, 4
	.loc	1 41 49 is_stmt 0               ; attention_bwd.py:41:49 @[ attention_bwd.py:184:50 ]
	v_ashrrev_i32_e32 v15, 31, v14
	.loc	1 47 25 is_stmt 1               ; attention_bwd.py:47:25 @[ attention_bwd.py:184:50 ]
	v_add_co_u32_e32 v0, vcc, v16, v18
	.loc	1 41 67                         ; attention_bwd.py:41:67 @[ attention_bwd.py:184:50 ]
	v_add_u32_e32 v12, s60, v8
	.loc	1 47 25                         ; attention_bwd.py:47:25 @[ attention_bwd.py:184:50 ]
	v_addc_co_u32_e32 v1, vcc, v17, v19, vcc
	v_lshlrev_b64 v[14:15], 1, v[14:15]
	v_accvgpr_write_b32 a61, v84
	.loc	1 41 49                         ; attention_bwd.py:41:49 @[ attention_bwd.py:184:50 ]
	v_ashrrev_i32_e32 v13, 31, v12
	.loc	1 47 25                         ; attention_bwd.py:47:25 @[ attention_bwd.py:184:50 ]
	v_add_co_u32_e32 v84, vcc, v18, v14
	v_and_b32_e32 v2, 0x62, v137
	v_and_b32_e32 v10, 2, v125
	v_accvgpr_write_b32 a63, v85
	v_addc_co_u32_e32 v85, vcc, v19, v15, vcc
	v_lshlrev_b64 v[12:13], 1, v[12:13]
	v_lshl_or_b32 v2, v21, 5, v2
	v_lshlrev_b32_e32 v3, 8, v10
	v_accvgpr_write_b32 a92, v86
	.loc	1 41 49                         ; attention_bwd.py:41:49 @[ attention_bwd.py:184:50 ]
	v_ashrrev_i32_e32 v9, 31, v8
	.loc	1 47 25                         ; attention_bwd.py:47:25 @[ attention_bwd.py:184:50 ]
	v_add_co_u32_e32 v86, vcc, v18, v12
	v_or3_b32 v159, v2, v3, v21
	v_or_b32_e32 v2, 12, v128
	v_accvgpr_write_b32 a97, v91
	v_accvgpr_write_b32 a93, v87
	v_addc_co_u32_e32 v87, vcc, v19, v13, vcc
	v_lshlrev_b64 v[8:9], 1, v[8:9]
	v_mul_lo_u32 v2, s52, v2
	v_accvgpr_write_b32 a96, v90
	v_add_co_u32_e32 v90, vcc, v18, v8
	v_ashrrev_i32_e32 v3, 31, v2
	v_addc_co_u32_e32 v89, vcc, v19, v9, vcc
	v_lshlrev_b64 v[2:3], 1, v[2:3]
	v_add_co_u32_e32 v4, vcc, v2, v126
	v_or_b32_e32 v2, 8, v128
	v_mul_lo_u32 v2, s52, v2
	v_addc_co_u32_e32 v5, vcc, v3, v127, vcc
	v_ashrrev_i32_e32 v3, 31, v2
	v_lshlrev_b64 v[2:3], 1, v[2:3]
	v_add_co_u32_e32 v6, vcc, v2, v126
	v_or_b32_e32 v2, 4, v128
	v_mul_lo_u32 v2, s52, v2
	v_addc_co_u32_e32 v7, vcc, v3, v127, vcc
	v_ashrrev_i32_e32 v3, 31, v2
	v_lshlrev_b64 v[2:3], 1, v[2:3]
	v_add_co_u32_e32 v2, vcc, v2, v126
	v_and_b32_e32 v11, 1, v125
	v_accvgpr_write_b32 a107, v105
	v_addc_co_u32_e32 v3, vcc, v3, v127, vcc
	v_lshlrev_b32_e32 v158, 9, v11
	v_accvgpr_write_b32 a8, v11
	v_lshlrev_b32_e32 v182, 10, v11
	v_lshlrev_b32_e32 v12, 1, v173
	;; [unrolled: 1-line block ×3, first 2 shown]
	v_accvgpr_write_b32 a106, v104
	v_add3_u32 v150, 0, v11, v12
	v_mov_b32_e32 v11, s15
	v_add_co_u32_e32 v104, vcc, s14, v4
	v_accvgpr_write_b32 a109, v107
	v_addc_co_u32_e32 v105, vcc, v11, v5, vcc
	v_accvgpr_write_b32 a108, v106
	v_add_co_u32_e32 v106, vcc, s14, v6
	v_accvgpr_write_b32 a111, v109
	v_addc_co_u32_e32 v107, vcc, v11, v7, vcc
	v_accvgpr_write_b32 a110, v108
	v_add_co_u32_e32 v108, vcc, s14, v2
	v_addc_co_u32_e32 v109, vcc, v11, v3, vcc
	v_add_co_u32_e32 v2, vcc, v176, v126
	v_accvgpr_write_b32 a113, v111
	v_addc_co_u32_e32 v3, vcc, v177, v127, vcc
	v_accvgpr_write_b32 a112, v110
	v_lshl_add_u32 v8, v26, 3, 0
	v_lshlrev_b32_e32 v9, 1, v20
	v_add_co_u32_e32 v110, vcc, s14, v2
	v_add_u32_e32 v163, v8, v9
	v_lshl_add_u32 v9, v20, 5, 0
	v_addc_co_u32_e32 v111, vcc, v11, v3, vcc
	v_xor_b32_e32 v8, v22, v238
	v_lshl_add_u32 v9, v183, 3, v9
	v_mov_b32_e32 v82, s7
	v_add_co_u32_e32 v200, vcc, s6, v0
	v_accvgpr_write_b32 a125, v123
	v_add_u32_e32 v180, v9, v8
.Ltmp15:
	.loc	1 165 36                        ; attention_bwd.py:165:36
	v_lshrrev_b32_e32 v8, 2, v183
.Ltmp16:
	.loc	1 47 25                         ; attention_bwd.py:47:25 @[ attention_bwd.py:184:50 ]
	v_addc_co_u32_e32 v195, vcc, v82, v1, vcc
	v_accvgpr_write_b32 a124, v122
.Ltmp17:
	.loc	1 165 23                        ; attention_bwd.py:165:23
	v_or3_b32 v122, v8, v20, s33
	v_lshrrev_b32_e32 v8, 1, v125
.Ltmp18:
	.loc	1 47 25                         ; attention_bwd.py:47:25 @[ attention_bwd.py:184:50 ]
	v_add_co_u32_e32 v202, vcc, s6, v84
	v_and_b32_e32 v8, 12, v8
	s_movk_i32 s1, 0x1b0
	v_lshlrev_b32_e32 v9, 4, v125
	v_addc_co_u32_e32 v201, vcc, v82, v85, vcc
	v_accvgpr_write_b32 a119, v117
	v_and_or_b32 v157, v9, s1, v8
	v_bfe_i32 v8, v125, 7, 1
	v_add_co_u32_e32 v204, vcc, s6, v86
	v_accvgpr_write_b32 a118, v116
	v_and_b32_e32 v160, 0x440, v9
	v_and_b32_e32 v240, 0x84, v8
	;; [unrolled: 1-line block ×3, first 2 shown]
	v_lshlrev_b32_e32 v194, 1, v10
	v_addc_co_u32_e32 v203, vcc, v82, v87, vcc
	v_accvgpr_write_b32 a99, v93
	v_accvgpr_write_b32 a103, v97
	v_accvgpr_write_b32 a7, v10
	v_or_b32_e32 v8, v160, v116
	v_xor_b32_e32 v161, v240, v194
	v_lshlrev_b32_e32 v9, 8, v125
	.loc	1 41 56                         ; attention_bwd.py:41:56 @[ attention_bwd.py:184:50 ]
	v_lshrrev_b32_e32 v207, 5, v125
	v_and_b32_e32 v10, 0x80, v125
	.loc	1 47 25                         ; attention_bwd.py:47:25 @[ attention_bwd.py:184:50 ]
	v_add_co_u32_e32 v206, vcc, s6, v90
	v_accvgpr_write_b32 a98, v92
	v_accvgpr_write_b32 a102, v96
.Ltmp19:
	.loc	1 172 16                        ; attention_bwd.py:172:16
	ds_read_b64 a[30:31], v35
	ds_read_b64 a[28:29], v30
	;; [unrolled: 1-line block ×8, first 2 shown]
	v_or3_b32 v8, v8, v161, v158
	v_and_b32_e32 v9, 0x400, v9
	v_lshlrev_b32_e32 v181, 1, v255
	v_lshlrev_b32_e32 v239, 3, v21
	v_accvgpr_write_b32 a9, v10
	v_lshlrev_b32_e32 v132, 2, v10
	v_and_or_b32 v10, v207, 2, v238
	v_accvgpr_write_b32 a140, v84
	v_accvgpr_write_b32 a141, v85
	;; [unrolled: 1-line block ×6, first 2 shown]
.Ltmp20:
	.loc	1 47 25                         ; attention_bwd.py:47:25 @[ attention_bwd.py:184:50 ]
	v_addc_co_u32_e32 v205, vcc, v82, v89, vcc
	v_accvgpr_write_b32 a137, v88
.Ltmp21:
	.loc	1 172 16                        ; attention_bwd.py:172:16
	ds_read2st64_b64 v[86:89], v88 offset1:16
	v_accvgpr_write_b32 a129, v83
	ds_read2st64_b64 v[90:93], v83 offset1:16
	v_accvgpr_write_b32 a130, v94
	ds_read2st64_b64 v[94:97], v94 offset1:16
	ds_read2st64_b64 v[82:85], v102 offset1:16
	v_or3_b32 v9, v9, v181, v157
	v_or3_b32 v10, v10, v239, v132
	v_xor_b32_e32 v2, 8, v8
.Ltmp22:
	.loc	1 72 28                         ; attention_bwd.py:72:28 @[ attention_bwd.py:184:50 ]
	s_lshl_b32 s2, s52, 4
	v_or3_b32 v10, v10, v182, v194
	v_add_u32_e32 v242, 0, v2
	v_xor_b32_e32 v2, 4, v9
	v_xor_b32_e32 v3, 8, v9
	;; [unrolled: 1-line block ×3, first 2 shown]
	v_accvgpr_write_b32 a69, v61
	v_accvgpr_write_b32 a71, v63
	v_accvgpr_write_b32 a73, v65
	v_accvgpr_write_b32 a115, v113
	v_accvgpr_write_b32 a117, v115
	v_accvgpr_write_b32 a123, v121
	v_accvgpr_write_b32 a128, v34
	s_ashr_i32 s3, s2, 31
	v_add_u32_e32 v244, 0, v2
	v_add_u32_e32 v245, 0, v3
	;; [unrolled: 1-line block ×3, first 2 shown]
	v_xor_b32_e32 v2, 0x84, v10
	v_xor_b32_e32 v3, 0x108, v10
	;; [unrolled: 1-line block ×3, first 2 shown]
	v_mov_b32_e32 v34, 0
.Ltmp23:
	.loc	1 165 23                        ; attention_bwd.py:165:23
	v_or_b32_e32 v184, 64, v122
	v_accvgpr_write_b32 a68, v60
	v_accvgpr_write_b32 a70, v62
	;; [unrolled: 1-line block ×6, first 2 shown]
	s_mov_b32 s0, 16
	v_accvgpr_write_b32 a131, v35
	v_accvgpr_write_b32 a126, v30
	;; [unrolled: 1-line block ×8, first 2 shown]
.Ltmp24:
	.loc	1 47 25                         ; attention_bwd.py:47:25 @[ attention_bwd.py:184:50 ]
	s_lshl_b64 s[46:47], s[2:3], 1
	s_mov_b32 s1, 0x5040100
	v_add_u32_e32 v241, 0, v8
	v_add_u32_e32 v243, 0, v9
	;; [unrolled: 1-line block ×6, first 2 shown]
	s_mov_b32 s2, 0x7060302
	v_mov_b32_e32 v35, v34
	v_mov_b32_e32 v36, v34
	;; [unrolled: 1-line block ×63, first 2 shown]
	v_accvgpr_write_b32 a138, v0
	v_accvgpr_write_b32 a139, v1
	.loc	1 56 39                         ; attention_bwd.py:56:39 @[ attention_bwd.py:184:50 ]
	v_mov_b32_e32 v117, v122
	v_mov_b32_e32 v123, v184
	v_accvgpr_write_b32 a132, v102
.LBB0_1:                                ; =>This Inner Loop Header: Depth=1
	.loc	1 0 39 is_stmt 0                ; attention_bwd.py:0:39
	v_pk_mov_b32 v[188:189], v[98:99], v[98:99] op_sel:[0,1]
	.loc	1 71 18 is_stmt 1               ; attention_bwd.py:71:18 @[ attention_bwd.py:184:50 ]
	v_add_co_u32_e32 v102, vcc, s50, v104
	v_mov_b32_e32 v98, s51
	v_addc_co_u32_e32 v103, vcc, v105, v98, vcc
	v_add_co_u32_e32 v112, vcc, s50, v106
	v_addc_co_u32_e32 v113, vcc, v107, v98, vcc
	v_add_co_u32_e32 v196, vcc, s50, v108
	v_addc_co_u32_e32 v197, vcc, v109, v98, vcc
	v_add_co_u32_e32 v198, vcc, s50, v110
	v_addc_co_u32_e32 v199, vcc, v111, v98, vcc
	v_add_co_u32_e32 v208, vcc, s50, v200
	v_addc_co_u32_e32 v209, vcc, v195, v98, vcc
	v_add_co_u32_e32 v214, vcc, s50, v202
	v_addc_co_u32_e32 v215, vcc, v201, v98, vcc
	v_add_co_u32_e32 v216, vcc, s50, v204
	v_addc_co_u32_e32 v217, vcc, v203, v98, vcc
	v_add_co_u32_e32 v218, vcc, s50, v206
	v_addc_co_u32_e32 v219, vcc, v205, v98, vcc
	.loc	1 48 21                         ; attention_bwd.py:48:21 @[ attention_bwd.py:184:50 ]
	global_load_ushort v133, v[218:219], off
	global_load_ushort v134, v[216:217], off
	;; [unrolled: 1-line block ×4, first 2 shown]
	s_add_i32 s3, s33, s0
	v_pk_mov_b32 v[190:191], v[100:101], v[100:101] op_sel:[0,1]
	.loc	1 50 26                         ; attention_bwd.py:50:26 @[ attention_bwd.py:184:50 ]
	v_or_b32_e32 v100, s3, v152
	.loc	1 51 24                         ; attention_bwd.py:51:24 @[ attention_bwd.py:184:50 ]
	v_ashrrev_i32_e32 v121, 31, v100
	v_mov_b32_e32 v120, v100
	.loc	1 50 26                         ; attention_bwd.py:50:26 @[ attention_bwd.py:184:50 ]
	v_or_b32_e32 v101, s3, v175
	.loc	1 51 24                         ; attention_bwd.py:51:24 @[ attention_bwd.py:184:50 ]
	v_lshlrev_b64 v[120:121], 2, v[120:121]
	.loc	1 69 35                         ; attention_bwd.py:69:35 @[ attention_bwd.py:184:50 ]
	s_waitcnt lgkmcnt(0)
	s_barrier
	.loc	1 51 24                         ; attention_bwd.py:51:24 @[ attention_bwd.py:184:50 ]
	v_add_co_u32_e32 v130, vcc, s57, v120
	v_mov_b32_e32 v146, s58
	v_ashrrev_i32_e32 v139, 31, v101
	v_mov_b32_e32 v138, v101
	v_addc_co_u32_e32 v131, vcc, v146, v121, vcc
	v_lshlrev_b64 v[192:193], 2, v[138:139]
	v_add_co_u32_e32 v138, vcc, s57, v192
	.loc	1 50 26                         ; attention_bwd.py:50:26 @[ attention_bwd.py:184:50 ]
	v_or_b32_e32 v99, s3, v153
	.loc	1 51 24                         ; attention_bwd.py:51:24 @[ attention_bwd.py:184:50 ]
	v_addc_co_u32_e32 v139, vcc, v146, v193, vcc
	v_ashrrev_i32_e32 v143, 31, v99
	v_mov_b32_e32 v142, v99
	v_lshlrev_b64 v[234:235], 2, v[142:143]
	.loc	1 48 21                         ; attention_bwd.py:48:21 @[ attention_bwd.py:184:50 ]
	v_add_u32_e32 v162, 0, v137
	.loc	1 47 25                         ; attention_bwd.py:47:25 @[ attention_bwd.py:184:50 ]
	s_add_i32 s0, s0, 16
	s_cmpk_lg_i32 s0, 0x80
	.loc	1 69 35                         ; attention_bwd.py:69:35 @[ attention_bwd.py:184:50 ]
	s_waitcnt vmcnt(1)
	v_perm_b32 v98, v144, v133, s1
	ds_write_b32 v241, v98
	s_waitcnt vmcnt(0)
	v_perm_b32 v98, v145, v134, s1
	ds_write_b32 v242, v98 offset:256
	.loc	1 50 26                         ; attention_bwd.py:50:26 @[ attention_bwd.py:184:50 ]
	v_or_b32_e32 v98, s3, v174
	.loc	1 51 24                         ; attention_bwd.py:51:24 @[ attention_bwd.py:184:50 ]
	v_ashrrev_i32_e32 v141, 31, v98
	v_mov_b32_e32 v140, v98
	v_lshlrev_b64 v[232:233], 2, v[140:141]
	v_add_co_u32_e32 v140, vcc, s57, v232
	v_addc_co_u32_e32 v141, vcc, v146, v233, vcc
	v_add_co_u32_e32 v142, vcc, s57, v234
	v_addc_co_u32_e32 v143, vcc, v146, v235, vcc
	.loc	1 69 35                         ; attention_bwd.py:69:35 @[ attention_bwd.py:184:50 ]
	s_waitcnt lgkmcnt(0)
	s_barrier
	ds_read2st64_b32 v[220:221], v243 offset1:2
	ds_read2st64_b32 v[222:223], v244 offset1:2
	ds_read2st64_b32 v[224:225], v245 offset1:2
	ds_read2st64_b32 v[226:227], v246 offset1:2
	.loc	1 51 20                         ; attention_bwd.py:51:20 @[ attention_bwd.py:184:50 ]
	global_load_dword v254, v[130:131], off
	global_load_dword v253, v[138:139], off
	;; [unrolled: 1-line block ×4, first 2 shown]
	.loc	1 48 21                         ; attention_bwd.py:48:21 @[ attention_bwd.py:184:50 ]
	s_waitcnt lgkmcnt(0)
	s_barrier
	ds_write_b16 v162, v133
	ds_write_b16 v162, v134 offset:512
	ds_write_b16 v162, v144 offset:1024
	ds_write_b16 v162, v145 offset:1536
	s_waitcnt lgkmcnt(0)
	s_barrier
	ds_read_u16 v130, v163
	ds_read_u16 v133, v163 offset:32
	ds_read_u16 v131, v163 offset:64
	;; [unrolled: 1-line block ×15, first 2 shown]
	.loc	1 52 24                         ; attention_bwd.py:52:24 @[ attention_bwd.py:184:50 ]
	s_waitcnt lgkmcnt(12)
	v_perm_b32 v131, v134, v131, s1
	v_perm_b32 v130, v133, v130, s1
	s_waitcnt lgkmcnt(8)
	v_perm_b32 v147, v141, v140, s1
	v_perm_b32 v146, v139, v138, s1
	;; [unrolled: 3-line block ×3, first 2 shown]
	v_mfma_f32_16x16x16f16 v[138:141], v[130:131], v[78:79], 0
	s_waitcnt lgkmcnt(0)
	v_perm_b32 v165, v164, v151, s1
	v_perm_b32 v164, v149, v148, s1
	.loc	1 64 25                         ; attention_bwd.py:64:25 @[ attention_bwd.py:184:50 ]
	v_add_co_u32_e32 v228, vcc, s13, v120
	v_mov_b32_e32 v120, s56
	v_addc_co_u32_e32 v229, vcc, v120, v121, vcc
	.loc	1 52 24                         ; attention_bwd.py:52:24 @[ attention_bwd.py:184:50 ]
	v_mfma_f32_16x16x16f16 v[142:145], v[130:131], v[80:81], 0
	.loc	1 64 25                         ; attention_bwd.py:64:25 @[ attention_bwd.py:184:50 ]
	v_add_co_u32_e32 v230, vcc, s13, v192
	v_addc_co_u32_e32 v231, vcc, v120, v193, vcc
	v_add_co_u32_e32 v232, vcc, s13, v232
	v_addc_co_u32_e32 v233, vcc, v120, v233, vcc
	.loc	1 52 24                         ; attention_bwd.py:52:24 @[ attention_bwd.py:184:50 ]
	v_mfma_f32_16x16x16f16 v[138:141], v[146:147], v[74:75], v[138:141]
	.loc	1 64 25                         ; attention_bwd.py:64:25 @[ attention_bwd.py:184:50 ]
	v_add_co_u32_e32 v234, vcc, s13, v234
	v_addc_co_u32_e32 v235, vcc, v120, v235, vcc
	.loc	1 57 36                         ; attention_bwd.py:57:36 @[ attention_bwd.py:184:50 ]
	v_cmp_ge_i32_e32 vcc, v191, v117
	.loc	1 52 24                         ; attention_bwd.py:52:24 @[ attention_bwd.py:184:50 ]
	v_mfma_f32_16x16x16f16 v[142:145], v[146:147], v[76:77], v[142:145]
	v_mfma_f32_16x16x16f16 v[138:141], v[154:155], v[70:71], v[138:141]
	;; [unrolled: 1-line block ×5, first 2 shown]
	.loc	1 53 32                         ; attention_bwd.py:53:32 @[ attention_bwd.py:184:50 ]
	s_nop 9
	v_sub_f32_e32 v130, v138, v136
	v_sub_f32_e32 v131, v139, v135
	;; [unrolled: 1-line block ×4, first 2 shown]
	.loc	1 53 26 is_stmt 0               ; attention_bwd.py:53:26 @[ attention_bwd.py:184:50 ]
	v_exp_f32_e32 v149, v131
	v_xor_b32_e32 v131, 4, v159
	v_exp_f32_e32 v148, v130
	.loc	1 66 33 is_stmt 1               ; attention_bwd.py:66:33 @[ attention_bwd.py:184:50 ]
	v_add_u32_e32 v130, 0, v159
	.loc	1 53 32                         ; attention_bwd.py:53:32 @[ attention_bwd.py:184:50 ]
	v_sub_f32_e32 v136, v142, v136
	v_sub_f32_e32 v135, v143, v135
	.loc	1 58 21                         ; attention_bwd.py:58:21 @[ attention_bwd.py:184:50 ]
	global_load_ushort v140, v[198:199], off
	global_load_ushort v141, v[196:197], off
	;; [unrolled: 1-line block ×4, first 2 shown]
	.loc	1 53 32                         ; attention_bwd.py:53:32 @[ attention_bwd.py:184:50 ]
	v_sub_f32_e32 v119, v144, v119
	v_sub_f32_e32 v118, v145, v118
	.loc	1 66 33                         ; attention_bwd.py:66:33 @[ attention_bwd.py:184:50 ]
	v_add_u32_e32 v131, 0, v131
	.loc	1 53 26                         ; attention_bwd.py:53:26 @[ attention_bwd.py:184:50 ]
	v_exp_f32_e32 v169, v119
	v_exp_f32_e32 v170, v118
	.loc	1 66 33                         ; attention_bwd.py:66:33 @[ attention_bwd.py:184:50 ]
	s_waitcnt lgkmcnt(0)
	s_barrier
	s_waitcnt vmcnt(3)
	ds_write_b16 v247, v140
	s_waitcnt vmcnt(2)
	ds_write_b16 v248, v141
	;; [unrolled: 2-line block ×4, first 2 shown]
	s_waitcnt lgkmcnt(0)
	s_barrier
	ds_read_u16 v118, v130 offset:1024
	ds_read_u16 v119, v130
	ds_read_u16 v144, v130 offset:16
	ds_read_u16 v145, v130 offset:1040
	;; [unrolled: 1-line block ×3, first 2 shown]
	ds_read_u16 v139, v131
	ds_read_u16 v146, v131 offset:16
	ds_read_u16 v147, v131 offset:1040
	.loc	1 53 26                         ; attention_bwd.py:53:26 @[ attention_bwd.py:184:50 ]
	v_exp_f32_e32 v151, v133
	v_exp_f32_e32 v168, v134
	.loc	1 66 24                         ; attention_bwd.py:66:24 @[ attention_bwd.py:184:50 ]
	s_waitcnt lgkmcnt(2)
	v_perm_b32 v139, v138, v139, s1
	v_perm_b32 v138, v118, v119, s1
	v_xor_b32_e32 v133, 8, v159
	v_xor_b32_e32 v134, 12, v159
	.loc	1 66 33 is_stmt 0               ; attention_bwd.py:66:33 @[ attention_bwd.py:184:50 ]
	v_add_u32_e32 v133, 0, v133
	v_add_u32_e32 v134, 0, v134
	ds_read_u16 v154, v133 offset:1024
	ds_read_u16 v164, v133
	ds_read_u16 v166, v133 offset:16
	ds_read_u16 v171, v133 offset:1040
	;; [unrolled: 1-line block ×3, first 2 shown]
	ds_read_u16 v165, v134
	ds_read_u16 v167, v134 offset:16
	ds_read_u16 v172, v134 offset:1040
	.loc	1 66 24                         ; attention_bwd.py:66:24 @[ attention_bwd.py:184:50 ]
	v_mfma_f32_16x16x16f16 v[118:121], v[138:139], v[86:87], 0
	s_waitcnt lgkmcnt(6)
	v_perm_b32 v154, v154, v164, s1
	s_waitcnt lgkmcnt(2)
	v_perm_b32 v155, v155, v165, s1
	v_perm_b32 v165, v147, v146, s1
	;; [unrolled: 1-line block ×3, first 2 shown]
	s_waitcnt lgkmcnt(0)
	v_perm_b32 v167, v172, v167, s1
	v_perm_b32 v166, v171, v166, s1
	.loc	1 53 26 is_stmt 1               ; attention_bwd.py:53:26 @[ attention_bwd.py:184:50 ]
	v_exp_f32_e32 v135, v135
	.loc	1 66 24                         ; attention_bwd.py:66:24 @[ attention_bwd.py:184:50 ]
	v_mfma_f32_16x16x16f16 v[144:147], v[138:139], v[88:89], 0
	.loc	1 57 36                         ; attention_bwd.py:57:36 @[ attention_bwd.py:184:50 ]
	v_cndmask_b32_e32 v139, 0, v149, vcc
	v_cmp_ge_i32_e32 vcc, v190, v122
	v_cndmask_b32_e32 v138, 0, v148, vcc
	.loc	1 61 21                         ; attention_bwd.py:61:21 @[ attention_bwd.py:184:50 ]
	v_cvt_f16_f32_e32 v148, v138
	v_cvt_f16_f32_e32 v149, v139
	.loc	1 57 36                         ; attention_bwd.py:57:36 @[ attention_bwd.py:184:50 ]
	v_cmp_ge_i32_e32 vcc, v189, v117
	.loc	1 53 26                         ; attention_bwd.py:53:26 @[ attention_bwd.py:184:50 ]
	v_exp_f32_e32 v136, v136
	.loc	1 66 24                         ; attention_bwd.py:66:24 @[ attention_bwd.py:184:50 ]
	v_mfma_f32_16x16x16f16 v[118:121], v[154:155], v[90:91], v[118:121]
	.loc	1 61 21                         ; attention_bwd.py:61:21 @[ attention_bwd.py:184:50 ]
	s_waitcnt lgkmcnt(0)
	s_barrier
	.loc	1 66 24                         ; attention_bwd.py:66:24 @[ attention_bwd.py:184:50 ]
	v_mfma_f32_16x16x16f16 v[144:147], v[154:155], v[92:93], v[144:147]
	v_mfma_f32_16x16x16f16 v[118:121], v[164:165], v[94:95], v[118:121]
	;; [unrolled: 1-line block ×5, first 2 shown]
	.loc	1 67 26                         ; attention_bwd.py:67:26 @[ attention_bwd.py:184:50 ]
	s_nop 9
	v_pk_add_f32 v[118:119], v[118:119], v[212:213] neg_lo:[0,1] neg_hi:[0,1]
	.loc	1 67 20 is_stmt 0               ; attention_bwd.py:67:20 @[ attention_bwd.py:184:50 ]
	v_pk_mul_f32 v[138:139], v[138:139], v[118:119]
	.loc	1 68 21 is_stmt 1               ; attention_bwd.py:68:21 @[ attention_bwd.py:184:50 ]
	v_cvt_f16_f32_e32 v118, v139
	.loc	1 57 36                         ; attention_bwd.py:57:36 @[ attention_bwd.py:184:50 ]
	v_cndmask_b32_e32 v139, 0, v168, vcc
	v_cmp_ge_i32_e32 vcc, v188, v122
	.loc	1 68 21                         ; attention_bwd.py:68:21 @[ attention_bwd.py:184:50 ]
	v_cvt_f16_f32_e32 v119, v138
	.loc	1 57 36                         ; attention_bwd.py:57:36 @[ attention_bwd.py:184:50 ]
	v_cndmask_b32_e32 v138, 0, v151, vcc
	.loc	1 61 21                         ; attention_bwd.py:61:21 @[ attention_bwd.py:184:50 ]
	v_cvt_f16_f32_e32 v151, v138
	v_cvt_f16_f32_e32 v154, v139
	.loc	1 67 26                         ; attention_bwd.py:67:26 @[ attention_bwd.py:184:50 ]
	v_pk_add_f32 v[120:121], v[120:121], v[210:211] neg_lo:[0,1] neg_hi:[0,1]
	.loc	1 67 20 is_stmt 0               ; attention_bwd.py:67:20 @[ attention_bwd.py:184:50 ]
	v_pk_mul_f32 v[138:139], v[138:139], v[120:121]
	.loc	1 57 36 is_stmt 1               ; attention_bwd.py:57:36 @[ attention_bwd.py:184:50 ]
	v_cmp_ge_i32_e32 vcc, v191, v123
	.loc	1 68 21                         ; attention_bwd.py:68:21 @[ attention_bwd.py:184:50 ]
	v_cvt_f16_f32_e32 v120, v139
	.loc	1 57 36                         ; attention_bwd.py:57:36 @[ attention_bwd.py:184:50 ]
	v_cndmask_b32_e32 v139, 0, v135, vcc
	v_cmp_ge_i32_e32 vcc, v190, v184
	.loc	1 68 21                         ; attention_bwd.py:68:21 @[ attention_bwd.py:184:50 ]
	v_cvt_f16_f32_e32 v121, v138
	.loc	1 57 36                         ; attention_bwd.py:57:36 @[ attention_bwd.py:184:50 ]
	v_cndmask_b32_e32 v138, 0, v136, vcc
	.loc	1 67 26                         ; attention_bwd.py:67:26 @[ attention_bwd.py:184:50 ]
	v_pk_add_f32 v[144:145], v[144:145], v[212:213] neg_lo:[0,1] neg_hi:[0,1]
	.loc	1 61 21                         ; attention_bwd.py:61:21 @[ attention_bwd.py:184:50 ]
	v_pack_b32_f16 v155, v151, v154
	v_pack_b32_f16 v154, v148, v149
	v_cvt_f16_f32_e32 v148, v138
	v_cvt_f16_f32_e32 v149, v139
	.loc	1 67 20                         ; attention_bwd.py:67:20 @[ attention_bwd.py:184:50 ]
	v_pk_mul_f32 v[138:139], v[138:139], v[144:145]
	.loc	1 57 36                         ; attention_bwd.py:57:36 @[ attention_bwd.py:184:50 ]
	v_cmp_ge_i32_e32 vcc, v189, v123
	.loc	1 68 21                         ; attention_bwd.py:68:21 @[ attention_bwd.py:184:50 ]
	v_cvt_f16_f32_e32 v135, v139
	.loc	1 57 36                         ; attention_bwd.py:57:36 @[ attention_bwd.py:184:50 ]
	v_cndmask_b32_e32 v139, 0, v170, vcc
	v_cmp_ge_i32_e32 vcc, v188, v184
	.loc	1 68 21                         ; attention_bwd.py:68:21 @[ attention_bwd.py:184:50 ]
	v_cvt_f16_f32_e32 v136, v138
	.loc	1 57 36                         ; attention_bwd.py:57:36 @[ attention_bwd.py:184:50 ]
	v_cndmask_b32_e32 v138, 0, v169, vcc
	.loc	1 61 21                         ; attention_bwd.py:61:21 @[ attention_bwd.py:184:50 ]
	v_cvt_f16_f32_e32 v151, v138
	v_cvt_f16_f32_e32 v164, v139
	.loc	1 67 26                         ; attention_bwd.py:67:26 @[ attention_bwd.py:184:50 ]
	v_pk_add_f32 v[144:145], v[146:147], v[210:211] neg_lo:[0,1] neg_hi:[0,1]
	.loc	1 67 20 is_stmt 0               ; attention_bwd.py:67:20 @[ attention_bwd.py:184:50 ]
	v_pk_mul_f32 v[236:237], v[138:139], v[144:145]
	.loc	1 61 21 is_stmt 1               ; attention_bwd.py:61:21 @[ attention_bwd.py:184:50 ]
	v_pack_b32_f16 v138, v148, v149
	v_pack_b32_f16 v139, v151, v164
	v_xor_b32_e32 v144, 16, v156
	ds_write2st64_b64 v180, v[154:155], v[138:139] offset1:4
	v_add_u32_e32 v154, 0, v156
	v_add_u32_e32 v155, 0, v144
	s_waitcnt lgkmcnt(0)
	s_barrier
	ds_read_b64 v[138:139], v154
	ds_read_b64 v[0:1], v155
	.loc	1 58 21                         ; attention_bwd.py:58:21 @[ attention_bwd.py:184:50 ]
	s_waitcnt lgkmcnt(0)
	s_barrier
	ds_write_b16 v162, v140
	ds_write_b16 v162, v141 offset:512
	ds_write_b16 v162, v142 offset:1024
	;; [unrolled: 1-line block ×3, first 2 shown]
	s_waitcnt lgkmcnt(0)
	s_barrier
	.loc	1 64 21                         ; attention_bwd.py:64:21 @[ attention_bwd.py:184:50 ]
	global_load_dword v212, v[228:229], off
	global_load_dword v213, v[230:231], off
	;; [unrolled: 1-line block ×4, first 2 shown]
	.loc	1 58 21                         ; attention_bwd.py:58:21 @[ attention_bwd.py:184:50 ]
	ds_read_u16 v140, v150
	ds_read_u16 v142, v150 offset:128
	ds_read_u16 v141, v150 offset:256
	;; [unrolled: 1-line block ×15, first 2 shown]
	.loc	1 62 26                         ; attention_bwd.py:62:26 @[ attention_bwd.py:184:50 ]
	s_waitcnt lgkmcnt(12)
	v_perm_b32 v141, v143, v141, s1
	v_perm_b32 v140, v142, v140, s1
	s_waitcnt lgkmcnt(10)
	v_perm_b32 v142, v145, v144, s1
	s_waitcnt lgkmcnt(4)
	v_perm_b32 v145, v164, v151, s1
	v_perm_b32 v144, v149, v148, s1
	v_mfma_f32_32x32x8f16 v[34:49], v[140:141], v[138:139], v[34:49]
	v_perm_b32 v143, v147, v146, s1
	s_waitcnt lgkmcnt(0)
	v_perm_b32 v147, v168, v167, s1
	v_perm_b32 v146, v166, v165, s1
	.loc	1 68 21                         ; attention_bwd.py:68:21 @[ attention_bwd.py:184:50 ]
	v_pack_b32_f16 v121, v121, v120
	v_pack_b32_f16 v120, v119, v118
	;; [unrolled: 1-line block ×3, first 2 shown]
	s_waitcnt lgkmcnt(0)
	s_barrier
	.loc	1 69 26                         ; attention_bwd.py:69:26 @[ attention_bwd.py:184:50 ]
	v_perm_b32 v140, v225, v224, s2
	v_perm_b32 v141, v227, v226, s2
	.loc	1 47 25                         ; attention_bwd.py:47:25 @[ attention_bwd.py:184:50 ]
	v_add_co_u32_e32 v104, vcc, s46, v104
	v_mov_b32_e32 v135, v253
	v_mov_b32_e32 v136, v254
	.loc	1 62 26                         ; attention_bwd.py:62:26 @[ attention_bwd.py:184:50 ]
	v_mfma_f32_32x32x8f16 v[50:65], v[144:145], v[138:139], v[50:65]
	.loc	1 68 21                         ; attention_bwd.py:68:21 @[ attention_bwd.py:184:50 ]
	v_cvt_f16_f32_e32 v138, v237
	v_cvt_f16_f32_e32 v139, v236
	v_pack_b32_f16 v119, v139, v138
	ds_write2st64_b64 v180, v[120:121], v[118:119] offset1:4
	.loc	1 69 26                         ; attention_bwd.py:69:26 @[ attention_bwd.py:184:50 ]
	v_perm_b32 v118, v221, v220, s1
	v_perm_b32 v119, v223, v222, s1
	;; [unrolled: 1-line block ×4, first 2 shown]
	.loc	1 68 21                         ; attention_bwd.py:68:21 @[ attention_bwd.py:184:50 ]
	s_waitcnt lgkmcnt(0)
	s_barrier
	.loc	1 69 26                         ; attention_bwd.py:69:26 @[ attention_bwd.py:184:50 ]
	v_perm_b32 v120, v225, v224, s1
	v_perm_b32 v121, v227, v226, s1
	.loc	1 62 26                         ; attention_bwd.py:62:26 @[ attention_bwd.py:184:50 ]
	v_mfma_f32_32x32x8f16 v[34:49], v[142:143], v[0:1], v[34:49]
	v_mfma_f32_32x32x8f16 v[50:65], v[146:147], v[0:1], v[50:65]
	.loc	1 68 21                         ; attention_bwd.py:68:21 @[ attention_bwd.py:184:50 ]
	ds_read_b64 v[0:1], v154
	ds_read_b64 v[114:115], v155
	.loc	1 69 26                         ; attention_bwd.py:69:26 @[ attention_bwd.py:184:50 ]
	s_waitcnt lgkmcnt(1)
	v_mfma_f32_32x32x8f16 v[18:33], v[118:119], v[0:1], v[18:33]
	.loc	1 47 25                         ; attention_bwd.py:47:25 @[ attention_bwd.py:184:50 ]
	v_mov_b32_e32 v118, s47
	v_addc_co_u32_e32 v105, vcc, v105, v118, vcc
	v_add_co_u32_e32 v106, vcc, s46, v106
	v_addc_co_u32_e32 v107, vcc, v107, v118, vcc
	v_add_co_u32_e32 v108, vcc, s46, v108
	;; [unrolled: 2-line block ×3, first 2 shown]
	v_addc_co_u32_e32 v111, vcc, v111, v118, vcc
	.loc	1 69 26                         ; attention_bwd.py:69:26 @[ attention_bwd.py:184:50 ]
	v_mfma_f32_32x32x8f16 v[2:17], v[138:139], v[0:1], v[2:17]
	.loc	1 47 25                         ; attention_bwd.py:47:25 @[ attention_bwd.py:184:50 ]
	v_add_co_u32_e32 v200, vcc, s46, v200
	v_addc_co_u32_e32 v195, vcc, v195, v118, vcc
	v_add_co_u32_e32 v202, vcc, s46, v202
	v_addc_co_u32_e32 v201, vcc, v201, v118, vcc
	v_add_co_u32_e32 v204, vcc, s46, v204
	v_addc_co_u32_e32 v203, vcc, v203, v118, vcc
	v_add_co_u32_e32 v206, vcc, s46, v206
	v_addc_co_u32_e32 v205, vcc, v205, v118, vcc
	.loc	1 69 26                         ; attention_bwd.py:69:26 @[ attention_bwd.py:184:50 ]
	s_waitcnt lgkmcnt(0)
	v_mfma_f32_32x32x8f16 v[18:33], v[120:121], v[114:115], v[18:33]
	v_mov_b32_e32 v118, v251
	v_mov_b32_e32 v119, v252
	v_mfma_f32_32x32x8f16 v[2:17], v[140:141], v[114:115], v[2:17]
	.loc	1 47 25                         ; attention_bwd.py:47:25 @[ attention_bwd.py:184:50 ]
	s_cbranch_scc1 .LBB0_1
; %bb.2:
	.loc	1 72 19                         ; attention_bwd.py:72:19 @[ attention_bwd.py:184:50 ]
	v_mov_b32_e32 v135, s47
	v_add_co_u32_e32 v104, vcc, s46, v218
	v_addc_co_u32_e32 v105, vcc, v219, v135, vcc
	v_add_co_u32_e32 v106, vcc, s46, v216
	v_addc_co_u32_e32 v107, vcc, v217, v135, vcc
	v_add_co_u32_e32 v108, vcc, s46, v214
	v_addc_co_u32_e32 v109, vcc, v215, v135, vcc
	v_add_co_u32_e32 v110, vcc, s46, v208
	v_addc_co_u32_e32 v111, vcc, v209, v135, vcc
	.loc	1 48 21                         ; attention_bwd.py:48:21 @[ attention_bwd.py:184:50 ]
	global_load_ushort v118, v[104:105], off
	global_load_ushort v119, v[106:107], off
	;; [unrolled: 1-line block ×4, first 2 shown]
	.loc	1 69 35                         ; attention_bwd.py:69:35 @[ attention_bwd.py:184:50 ]
	v_or_b32_e32 v104, v160, v161
	v_and_b32_e32 v241, 4, v125
	v_or3_b32 v104, v104, v158, v116
	v_lshlrev_b32_e32 v105, 8, v241
	v_add_u32_e32 v242, 0, v104
	v_xor_b32_e32 v104, 8, v104
	v_or3_b32 v105, v157, v105, v181
	s_mov_b32 s16, 0x5040100
	.loc	1 73 19                         ; attention_bwd.py:73:19 @[ attention_bwd.py:184:50 ]
	v_add_co_u32_e32 v138, vcc, s46, v198
	.loc	1 69 35                         ; attention_bwd.py:69:35 @[ attention_bwd.py:184:50 ]
	v_add_u32_e32 v243, 0, v104
	v_add_u32_e32 v244, 0, v105
	v_xor_b32_e32 v104, 4, v105
	v_xor_b32_e32 v106, 8, v105
	;; [unrolled: 1-line block ×3, first 2 shown]
	v_add_u32_e32 v245, 0, v104
	v_add_u32_e32 v247, 0, v105
	.loc	1 73 19                         ; attention_bwd.py:73:19 @[ attention_bwd.py:184:50 ]
	v_add_co_u32_e64 v140, s[0:1], s46, v196
	v_add_co_u32_e64 v112, s[2:3], s46, v112
	v_addc_co_u32_e32 v139, vcc, v199, v135, vcc
	v_mov_b32_e32 v147, v116
	.loc	1 69 35                         ; attention_bwd.py:69:35 @[ attention_bwd.py:184:50 ]
	s_waitcnt lgkmcnt(0)
	s_barrier
	v_add_u32_e32 v246, 0, v106
	.loc	1 73 19                         ; attention_bwd.py:73:19 @[ attention_bwd.py:184:50 ]
	v_addc_co_u32_e64 v141, vcc, v197, v135, s[0:1]
	v_addc_co_u32_e64 v113, vcc, v113, v135, s[2:3]
	v_add_co_u32_e64 v102, s[4:5], s46, v102
	v_addc_co_u32_e64 v103, vcc, v103, v135, s[4:5]
	.loc	1 66 33                         ; attention_bwd.py:66:33 @[ attention_bwd.py:184:50 ]
	v_and_b32_e32 v248, 64, v125
	.loc	1 57 36                         ; attention_bwd.py:57:36 @[ attention_bwd.py:184:50 ]
	v_cmp_ge_i32_e32 vcc, v101, v117
	.loc	1 69 26                         ; attention_bwd.py:69:26 @[ attention_bwd.py:184:50 ]
	s_mov_b32 s0, 0x7060302
.Ltmp25:
	.loc	1 188 19                        ; attention_bwd.py:188:19
	s_add_i32 s4, s33, 0x80
	.loc	1 191 25                        ; attention_bwd.py:191:25
	s_sub_i32 s5, s55, s4
.Ltmp26:
	.loc	1 47 25                         ; attention_bwd.py:47:25 @[ attention_bwd.py:200:26 ]
	s_cmp_gt_i32 s5, 31
	s_cselect_b64 s[2:3], -1, 0
	s_cmp_lt_i32 s5, 32
	v_mov_b32_e32 v151, 0
.Ltmp27:
	.loc	1 69 35                         ; attention_bwd.py:69:35 @[ attention_bwd.py:184:50 ]
	s_waitcnt vmcnt(1)
	v_perm_b32 v104, v120, v118, s16
	s_waitcnt vmcnt(0)
	v_perm_b32 v105, v121, v119, s16
	ds_write_b32 v242, v104
	ds_write_b32 v243, v105 offset:256
	s_waitcnt lgkmcnt(0)
	s_barrier
	ds_read2st64_b32 v[108:109], v244 offset1:2
	ds_read2st64_b32 v[110:111], v245 offset1:2
	ds_read2st64_b32 v[104:105], v246 offset1:2
	ds_read2st64_b32 v[106:107], v247 offset1:2
	.loc	1 48 21                         ; attention_bwd.py:48:21 @[ attention_bwd.py:184:50 ]
	s_waitcnt lgkmcnt(0)
	s_barrier
	ds_write_b16 v162, v118
	ds_write_b16 v162, v119 offset:512
	ds_write_b16 v162, v120 offset:1024
	;; [unrolled: 1-line block ×3, first 2 shown]
	s_waitcnt lgkmcnt(0)
	s_barrier
	.loc	1 58 21                         ; attention_bwd.py:58:21 @[ attention_bwd.py:184:50 ]
	global_load_ushort v114, v[138:139], off
	global_load_ushort v115, v[140:141], off
	;; [unrolled: 1-line block ×4, first 2 shown]
	.loc	1 48 21                         ; attention_bwd.py:48:21 @[ attention_bwd.py:184:50 ]
	ds_read_u16 v118, v163
	ds_read_u16 v119, v163 offset:32
	ds_read_u16 v120, v163 offset:64
	;; [unrolled: 1-line block ×10, first 2 shown]
	.loc	1 52 24                         ; attention_bwd.py:52:24 @[ attention_bwd.py:184:50 ]
	s_waitcnt lgkmcnt(9)
	v_perm_b32 v142, v119, v118, s16
	s_waitcnt lgkmcnt(7)
	v_perm_b32 v143, v121, v120, s16
	;; [unrolled: 2-line block ×3, first 2 shown]
	v_mfma_f32_16x16x16f16 v[118:121], v[142:143], v[78:79], 0
	.loc	1 66 33                         ; attention_bwd.py:66:33 @[ attention_bwd.py:184:50 ]
	v_or_b32_e32 v112, v239, v132
	.loc	1 52 24                         ; attention_bwd.py:52:24 @[ attention_bwd.py:184:50 ]
	v_mfma_f32_16x16x16f16 v[78:81], v[142:143], v[80:81], 0
	v_perm_b32 v143, v145, v144, s16
	v_perm_b32 v142, v146, v136, s16
	s_nop 1
	v_mfma_f32_16x16x16f16 v[118:121], v[142:143], v[74:75], v[118:121]
	v_mfma_f32_16x16x16f16 v[74:77], v[142:143], v[76:77], v[78:81]
	.loc	1 48 21                         ; attention_bwd.py:48:21 @[ attention_bwd.py:184:50 ]
	s_nop 6
	ds_read_u16 v78, v163 offset:1056
	.loc	1 52 24                         ; attention_bwd.py:52:24 @[ attention_bwd.py:184:50 ]
	s_waitcnt lgkmcnt(0)
	v_perm_b32 v102, v78, v102, s16
	s_nop 1
	v_mfma_f32_16x16x16f16 v[78:81], v[102:103], v[70:71], v[118:121]
	.loc	1 48 21                         ; attention_bwd.py:48:21 @[ attention_bwd.py:184:50 ]
	ds_read_u16 v70, v163 offset:1536
	ds_read_u16 v71, v163 offset:1600
	ds_read_u16 v113, v163 offset:1632
	s_nop 3
	ds_read_u16 v118, v163 offset:1568
	.loc	1 66 33                         ; attention_bwd.py:66:33 @[ attention_bwd.py:184:50 ]
	s_waitcnt lgkmcnt(0)
	s_barrier
	.loc	1 52 24                         ; attention_bwd.py:52:24 @[ attention_bwd.py:184:50 ]
	v_perm_b32 v71, v113, v71, s16
	v_perm_b32 v70, v118, v70, s16
	v_mfma_f32_16x16x16f16 v[74:77], v[102:103], v[72:73], v[74:77]
	.loc	1 66 33                         ; attention_bwd.py:66:33 @[ attention_bwd.py:184:50 ]
	v_lshrrev_b32_e32 v72, 5, v248
	v_or3_b32 v73, v112, v238, v72
	v_or3_b32 v73, v73, v194, v182
	v_xor_b32_e32 v103, 0x84, v73
	v_add_u32_e32 v102, 0, v73
	.loc	1 52 24                         ; attention_bwd.py:52:24 @[ attention_bwd.py:184:50 ]
	v_mfma_f32_16x16x16f16 v[78:81], v[70:71], v[66:67], v[78:81]
	.loc	1 66 33                         ; attention_bwd.py:66:33 @[ attention_bwd.py:184:50 ]
	v_xor_b32_e32 v66, 0x108, v73
	v_xor_b32_e32 v67, 0x18c, v73
	v_add_u32_e32 v73, 0, v103
	v_add_u32_e32 v103, 0, v66
	;; [unrolled: 1-line block ×3, first 2 shown]
	s_waitcnt vmcnt(3)
	ds_write_b16 v102, v114
	s_waitcnt vmcnt(2)
	ds_write_b16 v73, v115
	;; [unrolled: 2-line block ×4, first 2 shown]
	.loc	1 52 24                         ; attention_bwd.py:52:24 @[ attention_bwd.py:184:50 ]
	v_mfma_f32_16x16x16f16 v[66:69], v[70:71], v[68:69], v[74:77]
	.loc	1 53 32                         ; attention_bwd.py:53:32 @[ attention_bwd.py:184:50 ]
	v_sub_f32_e32 v71, v79, v253
	v_sub_f32_e32 v70, v78, v254
	.loc	1 53 26 is_stmt 0               ; attention_bwd.py:53:26 @[ attention_bwd.py:184:50 ]
	v_exp_f32_e32 v71, v71
	v_exp_f32_e32 v70, v70
	.loc	1 66 33 is_stmt 1               ; attention_bwd.py:66:33 @[ attention_bwd.py:184:50 ]
	s_waitcnt lgkmcnt(0)
	s_barrier
	.loc	1 57 36                         ; attention_bwd.py:57:36 @[ attention_bwd.py:184:50 ]
	v_cndmask_b32_e32 v71, 0, v71, vcc
	.loc	1 53 32                         ; attention_bwd.py:53:32 @[ attention_bwd.py:184:50 ]
	v_sub_f32_e32 v75, v81, v251
	v_sub_f32_e32 v74, v80, v252
	.loc	1 53 26 is_stmt 0               ; attention_bwd.py:53:26 @[ attention_bwd.py:184:50 ]
	v_exp_f32_e32 v75, v75
	v_exp_f32_e32 v74, v74
	.loc	1 53 32                         ; attention_bwd.py:53:32 @[ attention_bwd.py:184:50 ]
	v_sub_f32_e32 v67, v67, v253
	v_sub_f32_e32 v66, v66, v254
	.loc	1 53 26                         ; attention_bwd.py:53:26 @[ attention_bwd.py:184:50 ]
	v_exp_f32_e32 v67, v67
	.loc	1 57 36 is_stmt 1               ; attention_bwd.py:57:36 @[ attention_bwd.py:184:50 ]
	v_cmp_ge_i32_e32 vcc, v100, v122
	.loc	1 53 32                         ; attention_bwd.py:53:32 @[ attention_bwd.py:184:50 ]
	v_sub_f32_e32 v69, v69, v251
	.loc	1 53 26 is_stmt 0               ; attention_bwd.py:53:26 @[ attention_bwd.py:184:50 ]
	v_exp_f32_e32 v66, v66
	.loc	1 57 36 is_stmt 1               ; attention_bwd.py:57:36 @[ attention_bwd.py:184:50 ]
	v_cndmask_b32_e32 v70, 0, v70, vcc
	v_cmp_ge_i32_e32 vcc, v99, v117
	.loc	1 53 32                         ; attention_bwd.py:53:32 @[ attention_bwd.py:184:50 ]
	v_sub_f32_e32 v68, v68, v252
	.loc	1 53 26 is_stmt 0               ; attention_bwd.py:53:26 @[ attention_bwd.py:184:50 ]
	v_exp_f32_e32 v69, v69
	.loc	1 57 36 is_stmt 1               ; attention_bwd.py:57:36 @[ attention_bwd.py:184:50 ]
	v_cndmask_b32_e32 v79, 0, v75, vcc
	v_cmp_ge_i32_e32 vcc, v98, v122
	.loc	1 53 26                         ; attention_bwd.py:53:26 @[ attention_bwd.py:184:50 ]
	v_exp_f32_e32 v68, v68
	.loc	1 57 36                         ; attention_bwd.py:57:36 @[ attention_bwd.py:184:50 ]
	v_cndmask_b32_e32 v78, 0, v74, vcc
	v_cmp_ge_i32_e32 vcc, v101, v123
	v_cndmask_b32_e32 v81, 0, v67, vcc
	v_cmp_ge_i32_e32 vcc, v100, v184
	;; [unrolled: 2-line block ×4, first 2 shown]
	v_cndmask_b32_e32 v98, 0, v68, vcc
	.loc	1 61 21                         ; attention_bwd.py:61:21 @[ attention_bwd.py:184:50 ]
	v_cvt_f16_f32_e32 v135, v70
	v_cvt_f16_f32_e32 v136, v71
	;; [unrolled: 1-line block ×8, first 2 shown]
	v_pack_b32_f16 v67, v74, v75
	v_pack_b32_f16 v66, v135, v136
	;; [unrolled: 1-line block ×4, first 2 shown]
	.loc	1 66 33                         ; attention_bwd.py:66:33 @[ attention_bwd.py:184:50 ]
	ds_read_u16 v73, v130 offset:1024
	ds_read_u16 v76, v130
	ds_read_u16 v77, v130 offset:1040
	ds_read_u16 v102, v131 offset:1024
	ds_read_u16 v103, v131
	ds_read_u16 v112, v131 offset:1040
	ds_read_u16 v113, v131 offset:16
	;; [unrolled: 1-line block ×4, first 2 shown]
	ds_read_u16 v120, v133
	ds_read_u16 v121, v133 offset:1040
	ds_read_u16 v130, v134 offset:1024
	ds_read_u16 v131, v134
	ds_read_u16 v132, v134 offset:1040
	ds_read_u16 v134, v134 offset:16
	ds_read_u16 v133, v133 offset:16
	.loc	1 61 21                         ; attention_bwd.py:61:21 @[ attention_bwd.py:184:50 ]
	s_waitcnt lgkmcnt(0)
	s_barrier
	ds_write2st64_b64 v180, v[66:67], v[68:69] offset1:4
	s_waitcnt lgkmcnt(0)
	s_barrier
	ds_read_b64 v[0:1], v154
	ds_read_b64 v[100:101], v155
	.loc	1 58 21                         ; attention_bwd.py:58:21 @[ attention_bwd.py:184:50 ]
	s_waitcnt lgkmcnt(0)
	s_barrier
	ds_write_b16 v162, v114
	ds_write_b16 v162, v115 offset:512
	ds_write_b16 v162, v116 offset:1024
	;; [unrolled: 1-line block ×3, first 2 shown]
	s_waitcnt lgkmcnt(0)
	s_barrier
	ds_read_u16 v66, v150
	ds_read_u16 v67, v150 offset:256
	ds_read_u16 v68, v150 offset:384
	;; [unrolled: 1-line block ×3, first 2 shown]
	.loc	1 66 24                         ; attention_bwd.py:66:24 @[ attention_bwd.py:184:50 ]
	v_perm_b32 v75, v102, v103, s16
	v_perm_b32 v74, v73, v76, s16
.Ltmp28:
	.loc	1 171 58                        ; attention_bwd.py:171:58
	v_lshrrev_b32_e32 v124, 3, v255
.Ltmp29:
	.loc	1 62 26                         ; attention_bwd.py:62:26 @[ attention_bwd.py:184:50 ]
	s_waitcnt lgkmcnt(1)
	v_perm_b32 v67, v68, v67, s16
	s_waitcnt lgkmcnt(0)
	v_perm_b32 v66, v69, v66, s16
	s_nop 1
	v_mfma_f32_32x32x8f16 v[34:49], v[66:67], v[0:1], v[34:49]
	.loc	1 58 21                         ; attention_bwd.py:58:21 @[ attention_bwd.py:184:50 ]
	ds_read_u16 v66, v150 offset:1024
	ds_read_u16 v67, v150 offset:1280
	;; [unrolled: 1-line block ×4, first 2 shown]
	.loc	1 62 26                         ; attention_bwd.py:62:26 @[ attention_bwd.py:184:50 ]
	s_waitcnt lgkmcnt(1)
	v_perm_b32 v67, v68, v67, s16
	s_waitcnt lgkmcnt(0)
	v_perm_b32 v66, v69, v66, s16
	s_nop 1
	v_mfma_f32_32x32x8f16 v[34:49], v[66:67], v[100:101], v[34:49]
	.loc	1 66 24                         ; attention_bwd.py:66:24 @[ attention_bwd.py:184:50 ]
	v_mfma_f32_16x16x16f16 v[66:69], v[74:75], v[86:87], 0
	v_perm_b32 v87, v130, v131, s16
	v_perm_b32 v86, v119, v120, s16
	s_nop 1
	v_mfma_f32_16x16x16f16 v[66:69], v[86:87], v[90:91], v[66:69]
	v_perm_b32 v91, v112, v113, s16
	v_perm_b32 v90, v77, v118, s16
	v_mfma_f32_16x16x16f16 v[74:77], v[74:75], v[88:89], 0
	s_nop 0
	v_mfma_f32_16x16x16f16 v[66:69], v[90:91], v[94:95], v[66:69]
	v_perm_b32 v95, v132, v134, s16
	v_perm_b32 v94, v121, v133, s16
	v_mfma_f32_16x16x16f16 v[74:77], v[86:87], v[92:93], v[74:77]
	s_nop 0
	v_mfma_f32_16x16x16f16 v[66:69], v[94:95], v[82:83], v[66:69]
	.loc	1 58 21                         ; attention_bwd.py:58:21 @[ attention_bwd.py:184:50 ]
	ds_read_u16 v73, v150 offset:448
	ds_read_u16 v82, v150 offset:320
	;; [unrolled: 1-line block ×4, first 2 shown]
	.loc	1 62 26                         ; attention_bwd.py:62:26 @[ attention_bwd.py:184:50 ]
	s_waitcnt lgkmcnt(2)
	v_perm_b32 v83, v73, v82, s16
	s_waitcnt lgkmcnt(0)
	v_perm_b32 v82, v86, v87, s16
	.loc	1 66 24                         ; attention_bwd.py:66:24 @[ attention_bwd.py:184:50 ]
	v_mfma_f32_16x16x16f16 v[74:77], v[90:91], v[96:97], v[74:77]
	.loc	1 67 26                         ; attention_bwd.py:67:26 @[ attention_bwd.py:184:50 ]
	s_nop 1
	v_pk_add_f32 v[66:67], v[66:67], v[212:213] neg_lo:[0,1] neg_hi:[0,1]
	.loc	1 67 20 is_stmt 0               ; attention_bwd.py:67:20 @[ attention_bwd.py:184:50 ]
	v_pk_mul_f32 v[66:67], v[70:71], v[66:67]
	.loc	1 68 21 is_stmt 1               ; attention_bwd.py:68:21 @[ attention_bwd.py:184:50 ]
	v_cvt_f16_f32_e32 v70, v67
	v_cvt_f16_f32_e32 v71, v66
	.loc	1 67 26                         ; attention_bwd.py:67:26 @[ attention_bwd.py:184:50 ]
	v_pk_add_f32 v[66:67], v[68:69], v[210:211] neg_lo:[0,1] neg_hi:[0,1]
	.loc	1 67 20 is_stmt 0               ; attention_bwd.py:67:20 @[ attention_bwd.py:184:50 ]
	v_pk_mul_f32 v[66:67], v[78:79], v[66:67]
	.loc	1 68 21 is_stmt 1               ; attention_bwd.py:68:21 @[ attention_bwd.py:184:50 ]
	v_cvt_f16_f32_e32 v78, v67
	.loc	1 62 26                         ; attention_bwd.py:62:26 @[ attention_bwd.py:184:50 ]
	v_mfma_f32_32x32x8f16 v[50:65], v[82:83], v[0:1], v[50:65]
	.loc	1 68 21                         ; attention_bwd.py:68:21 @[ attention_bwd.py:184:50 ]
	v_cvt_f16_f32_e32 v79, v66
	.loc	1 66 24                         ; attention_bwd.py:66:24 @[ attention_bwd.py:184:50 ]
	v_mfma_f32_16x16x16f16 v[74:77], v[94:95], v[84:85], v[74:77]
	.loc	1 58 21                         ; attention_bwd.py:58:21 @[ attention_bwd.py:184:50 ]
	ds_read_u16 v84, v150 offset:1472
	ds_read_u16 v73, v150 offset:1344
	;; [unrolled: 1-line block ×4, first 2 shown]
	.loc	1 68 21                         ; attention_bwd.py:68:21 @[ attention_bwd.py:184:50 ]
	s_waitcnt lgkmcnt(0)
	s_barrier
	.loc	1 62 26                         ; attention_bwd.py:62:26 @[ attention_bwd.py:184:50 ]
	v_perm_b32 v69, v84, v73, s16
	v_perm_b32 v68, v85, v86, s16
	.loc	1 67 26                         ; attention_bwd.py:67:26 @[ attention_bwd.py:184:50 ]
	s_nop 2
	v_pk_add_f32 v[66:67], v[74:75], v[212:213] neg_lo:[0,1] neg_hi:[0,1]
	.loc	1 67 20 is_stmt 0               ; attention_bwd.py:67:20 @[ attention_bwd.py:184:50 ]
	v_pk_mul_f32 v[66:67], v[80:81], v[66:67]
	.loc	1 68 21 is_stmt 1               ; attention_bwd.py:68:21 @[ attention_bwd.py:184:50 ]
	v_cvt_f16_f32_e32 v73, v67
	v_cvt_f16_f32_e32 v74, v66
	.loc	1 67 26                         ; attention_bwd.py:67:26 @[ attention_bwd.py:184:50 ]
	v_pk_add_f32 v[66:67], v[76:77], v[210:211] neg_lo:[0,1] neg_hi:[0,1]
	.loc	1 67 20 is_stmt 0               ; attention_bwd.py:67:20 @[ attention_bwd.py:184:50 ]
	v_pk_mul_f32 v[66:67], v[98:99], v[66:67]
	.loc	1 62 26 is_stmt 1               ; attention_bwd.py:62:26 @[ attention_bwd.py:184:50 ]
	v_mfma_f32_32x32x8f16 v[50:65], v[68:69], v[100:101], v[50:65]
	.loc	1 68 21                         ; attention_bwd.py:68:21 @[ attention_bwd.py:184:50 ]
	v_cvt_f16_f32_e32 v68, v67
	v_cvt_f16_f32_e32 v69, v66
	v_pack_b32_f16 v67, v79, v78
	v_pack_b32_f16 v66, v71, v70
	;; [unrolled: 1-line block ×4, first 2 shown]
	ds_write2st64_b64 v180, v[66:67], v[68:69] offset1:4
	s_waitcnt lgkmcnt(0)
	s_barrier
	.loc	1 69 26                         ; attention_bwd.py:69:26 @[ attention_bwd.py:184:50 ]
	v_perm_b32 v66, v109, v108, s16
	v_perm_b32 v67, v111, v110, s16
	.loc	1 68 21                         ; attention_bwd.py:68:21 @[ attention_bwd.py:184:50 ]
	ds_read_b64 v[0:1], v154
	ds_read_b64 v[68:69], v155
	.loc	1 69 26                         ; attention_bwd.py:69:26 @[ attention_bwd.py:184:50 ]
	s_waitcnt lgkmcnt(1)
	v_mfma_f32_32x32x8f16 v[18:33], v[66:67], v[0:1], v[18:33]
	v_perm_b32 v66, v105, v104, s16
	v_perm_b32 v67, v107, v106, s16
	s_waitcnt lgkmcnt(0)
	s_nop 0
	v_mfma_f32_32x32x8f16 v[18:33], v[66:67], v[68:69], v[18:33]
	v_perm_b32 v66, v109, v108, s0
	v_perm_b32 v67, v111, v110, s0
	s_nop 1
	v_mfma_f32_32x32x8f16 v[2:17], v[66:67], v[0:1], v[2:17]
	v_perm_b32 v66, v105, v104, s0
	v_perm_b32 v67, v107, v106, s0
	s_nop 1
	v_mfma_f32_32x32x8f16 v[2:17], v[66:67], v[68:69], v[2:17]
.Ltmp30:
	.loc	1 50 26                         ; attention_bwd.py:50:26 @[ attention_bwd.py:200:26 ]
	v_or_b32_e32 v66, s4, v124
	v_ashrrev_i32_e32 v67, 31, v66
	.loc	1 51 20                         ; attention_bwd.py:51:20 @[ attention_bwd.py:200:26 ]
	s_cbranch_scc1 .LBB0_4
; %bb.3:
	.loc	1 0 20 is_stmt 0                ; attention_bwd.py:0:20
	v_lshlrev_b64 v[68:69], 2, v[66:67]
	v_mov_b32_e32 v70, s58
	v_add_co_u32_e32 v68, vcc, s57, v68
	v_addc_co_u32_e32 v69, vcc, v70, v69, vcc
	.loc	1 51 20                         ; attention_bwd.py:51:20 @[ attention_bwd.py:200:26 ]
	global_load_dword v151, v[68:69], off
.LBB0_4:
	.loc	1 51 24                         ; attention_bwd.py:51:24 @[ attention_bwd.py:200:26 ]
	s_ashr_i32 s0, s4, 31
	v_mov_b32_e32 v69, s0
	v_add_co_u32_e32 v68, vcc, s4, v124
	v_addc_co_u32_e32 v69, vcc, 0, v69, vcc
	v_lshlrev_b64 v[68:69], 2, v[68:69]
	.loc	1 51 20                         ; attention_bwd.py:51:20 @[ attention_bwd.py:200:26 ]
	v_cndmask_b32_e64 v70, 0, 1, s[2:3]
	.loc	1 51 24                         ; attention_bwd.py:51:24 @[ attention_bwd.py:200:26 ]
	v_mov_b32_e32 v71, s58
	.loc	1 51 20                         ; attention_bwd.py:51:20 @[ attention_bwd.py:200:26 ]
	v_cmp_ne_u32_e64 s[0:1], 1, v70
	s_andn2_b64 vcc, exec, s[2:3]
	.loc	1 51 24                         ; attention_bwd.py:51:24 @[ attention_bwd.py:200:26 ]
	v_add_co_u32_e64 v70, s[2:3], s57, v68
	v_addc_co_u32_e64 v71, s[2:3], v71, v69, s[2:3]
	v_accvgpr_read_b32 v84, a7
	.loc	1 51 20                         ; attention_bwd.py:51:20 @[ attention_bwd.py:200:26 ]
	s_cbranch_vccnz .LBB0_21
; %bb.5:
	global_load_dword v141, v[70:71], off offset:4
	v_mov_b32_e32 v73, v147
	s_and_b64 vcc, exec, s[0:1]
	s_cbranch_vccz .LBB0_22
.LBB0_6:
	.loc	1 0 20                          ; attention_bwd.py:0:20
	v_mov_b32_e32 v130, 0
	.loc	1 51 20                         ; attention_bwd.py:51:20 @[ attention_bwd.py:200:26 ]
	s_and_b64 vcc, exec, s[0:1]
	s_cbranch_vccz .LBB0_23
.LBB0_7:
	.loc	1 0 20                          ; attention_bwd.py:0:20
	v_mov_b32_e32 v131, 0
	.loc	1 51 20                         ; attention_bwd.py:51:20 @[ attention_bwd.py:200:26 ]
	s_and_b64 vcc, exec, s[0:1]
	s_cbranch_vccz .LBB0_24
.LBB0_8:
	.loc	1 0 20                          ; attention_bwd.py:0:20
	v_mov_b32_e32 v132, 0
	.loc	1 51 20                         ; attention_bwd.py:51:20 @[ attention_bwd.py:200:26 ]
	s_and_b64 vcc, exec, s[0:1]
	s_cbranch_vccz .LBB0_25
.LBB0_9:
	.loc	1 0 20                          ; attention_bwd.py:0:20
	v_mov_b32_e32 v133, 0
	.loc	1 51 20                         ; attention_bwd.py:51:20 @[ attention_bwd.py:200:26 ]
	s_and_b64 vcc, exec, s[0:1]
	s_cbranch_vccz .LBB0_26
.LBB0_10:
	.loc	1 0 20                          ; attention_bwd.py:0:20
	v_mov_b32_e32 v134, 0
	.loc	1 51 20                         ; attention_bwd.py:51:20 @[ attention_bwd.py:200:26 ]
	s_and_b64 vcc, exec, s[0:1]
	s_cbranch_vccz .LBB0_27
.LBB0_11:
	.loc	1 0 20                          ; attention_bwd.py:0:20
	v_mov_b32_e32 v135, 0
	.loc	1 51 20                         ; attention_bwd.py:51:20 @[ attention_bwd.py:200:26 ]
	s_and_b64 vcc, exec, s[0:1]
	s_cbranch_vccz .LBB0_28
.LBB0_12:
	.loc	1 0 20                          ; attention_bwd.py:0:20
	v_mov_b32_e32 v136, 0
	.loc	1 51 20                         ; attention_bwd.py:51:20 @[ attention_bwd.py:200:26 ]
	s_and_b64 vcc, exec, s[0:1]
	s_cbranch_vccz .LBB0_29
.LBB0_13:
	.loc	1 0 20                          ; attention_bwd.py:0:20
	v_mov_b32_e32 v140, 0
	.loc	1 51 20                         ; attention_bwd.py:51:20 @[ attention_bwd.py:200:26 ]
	s_and_b64 vcc, exec, s[0:1]
	s_cbranch_vccz .LBB0_30
.LBB0_14:
	.loc	1 0 20                          ; attention_bwd.py:0:20
	v_mov_b32_e32 v143, 0
	.loc	1 51 20                         ; attention_bwd.py:51:20 @[ attention_bwd.py:200:26 ]
	s_and_b64 vcc, exec, s[0:1]
	s_cbranch_vccz .LBB0_31
.LBB0_15:
	.loc	1 0 20                          ; attention_bwd.py:0:20
	v_mov_b32_e32 v139, 0
	.loc	1 51 20                         ; attention_bwd.py:51:20 @[ attention_bwd.py:200:26 ]
	s_and_b64 vcc, exec, s[0:1]
	s_cbranch_vccz .LBB0_32
.LBB0_16:
	.loc	1 0 20                          ; attention_bwd.py:0:20
	v_mov_b32_e32 v138, 0
	.loc	1 51 20                         ; attention_bwd.py:51:20 @[ attention_bwd.py:200:26 ]
	s_and_b64 vcc, exec, s[0:1]
	s_cbranch_vccz .LBB0_33
.LBB0_17:
	.loc	1 0 20                          ; attention_bwd.py:0:20
	v_mov_b32_e32 v142, 0
	.loc	1 51 20                         ; attention_bwd.py:51:20 @[ attention_bwd.py:200:26 ]
	s_and_b64 vcc, exec, s[0:1]
	s_cbranch_vccz .LBB0_34
.LBB0_18:
	.loc	1 0 20                          ; attention_bwd.py:0:20
	v_mov_b32_e32 v147, 0
	.loc	1 51 20                         ; attention_bwd.py:51:20 @[ attention_bwd.py:200:26 ]
	s_and_b64 vcc, exec, s[0:1]
	s_cbranch_vccz .LBB0_35
.LBB0_19:
	.loc	1 0 20                          ; attention_bwd.py:0:20
	v_mov_b32_e32 v146, 0
	.loc	1 64 21 is_stmt 1               ; attention_bwd.py:64:21 @[ attention_bwd.py:200:26 ]
	s_and_b64 vcc, exec, s[0:1]
	s_cbranch_vccz .LBB0_36
.LBB0_20:
	.loc	1 0 21 is_stmt 0                ; attention_bwd.py:0:21
	v_mov_b32_e32 v226, 0
	.loc	1 64 21                         ; attention_bwd.py:64:21 @[ attention_bwd.py:200:26 ]
	s_branch .LBB0_37
.LBB0_21:
	.loc	1 0 21                          ; attention_bwd.py:0:21
	v_mov_b32_e32 v141, 0
	v_mov_b32_e32 v73, v147
	.loc	1 51 20 is_stmt 1               ; attention_bwd.py:51:20 @[ attention_bwd.py:200:26 ]
	s_and_b64 vcc, exec, s[0:1]
	s_cbranch_vccnz .LBB0_6
.LBB0_22:
	global_load_dword v130, v[70:71], off offset:8
	s_and_b64 vcc, exec, s[0:1]
	s_cbranch_vccnz .LBB0_7
.LBB0_23:
	global_load_dword v131, v[70:71], off offset:12
	s_and_b64 vcc, exec, s[0:1]
	s_cbranch_vccnz .LBB0_8
.LBB0_24:
	global_load_dword v132, v[70:71], off offset:32
	s_and_b64 vcc, exec, s[0:1]
	s_cbranch_vccnz .LBB0_9
.LBB0_25:
	global_load_dword v133, v[70:71], off offset:36
	s_and_b64 vcc, exec, s[0:1]
	s_cbranch_vccnz .LBB0_10
.LBB0_26:
	global_load_dword v134, v[70:71], off offset:40
	s_and_b64 vcc, exec, s[0:1]
	s_cbranch_vccnz .LBB0_11
.LBB0_27:
	global_load_dword v135, v[70:71], off offset:44
	s_and_b64 vcc, exec, s[0:1]
	s_cbranch_vccnz .LBB0_12
.LBB0_28:
	global_load_dword v136, v[70:71], off offset:64
	s_and_b64 vcc, exec, s[0:1]
	s_cbranch_vccnz .LBB0_13
.LBB0_29:
	global_load_dword v140, v[70:71], off offset:68
	s_and_b64 vcc, exec, s[0:1]
	s_cbranch_vccnz .LBB0_14
.LBB0_30:
	global_load_dword v143, v[70:71], off offset:72
	s_and_b64 vcc, exec, s[0:1]
	s_cbranch_vccnz .LBB0_15
.LBB0_31:
	global_load_dword v139, v[70:71], off offset:76
	s_and_b64 vcc, exec, s[0:1]
	s_cbranch_vccnz .LBB0_16
.LBB0_32:
	global_load_dword v138, v[70:71], off offset:96
	s_and_b64 vcc, exec, s[0:1]
	s_cbranch_vccnz .LBB0_17
.LBB0_33:
	global_load_dword v142, v[70:71], off offset:100
	s_and_b64 vcc, exec, s[0:1]
	s_cbranch_vccnz .LBB0_18
.LBB0_34:
	global_load_dword v147, v[70:71], off offset:104
	s_and_b64 vcc, exec, s[0:1]
	s_cbranch_vccnz .LBB0_19
.LBB0_35:
	global_load_dword v146, v[70:71], off offset:108
	.loc	1 64 21                         ; attention_bwd.py:64:21 @[ attention_bwd.py:200:26 ]
	s_and_b64 vcc, exec, s[0:1]
	s_cbranch_vccnz .LBB0_20
.LBB0_36:
	.loc	1 0 21 is_stmt 0                ; attention_bwd.py:0:21
	v_lshlrev_b64 v[66:67], 2, v[66:67]
	v_mov_b32_e32 v70, s56
	v_add_co_u32_e32 v66, vcc, s13, v66
	v_addc_co_u32_e32 v67, vcc, v70, v67, vcc
	.loc	1 64 21                         ; attention_bwd.py:64:21 @[ attention_bwd.py:200:26 ]
	global_load_dword v226, v[66:67], off
.LBB0_37:
	.loc	1 64 25                         ; attention_bwd.py:64:25 @[ attention_bwd.py:200:26 ]
	v_mov_b32_e32 v67, s56
	v_add_co_u32_e64 v66, s[2:3], s13, v68
	.loc	1 64 21                         ; attention_bwd.py:64:21 @[ attention_bwd.py:200:26 ]
	s_and_b64 vcc, exec, s[0:1]
	.loc	1 64 25                         ; attention_bwd.py:64:25 @[ attention_bwd.py:200:26 ]
	v_addc_co_u32_e64 v67, s[2:3], v67, v69, s[2:3]
	.loc	1 64 21                         ; attention_bwd.py:64:21 @[ attention_bwd.py:200:26 ]
	s_cbranch_vccnz .LBB0_53
; %bb.38:
	global_load_dword v227, v[66:67], off offset:4
	s_and_b64 vcc, exec, s[0:1]
	s_cbranch_vccz .LBB0_54
.LBB0_39:
	.loc	1 0 21                          ; attention_bwd.py:0:21
	v_mov_b32_e32 v228, 0
	.loc	1 64 21                         ; attention_bwd.py:64:21 @[ attention_bwd.py:200:26 ]
	s_and_b64 vcc, exec, s[0:1]
	s_cbranch_vccz .LBB0_55
.LBB0_40:
	.loc	1 0 21                          ; attention_bwd.py:0:21
	v_mov_b32_e32 v229, 0
	.loc	1 64 21                         ; attention_bwd.py:64:21 @[ attention_bwd.py:200:26 ]
	s_and_b64 vcc, exec, s[0:1]
	s_cbranch_vccz .LBB0_56
.LBB0_41:
	.loc	1 0 21                          ; attention_bwd.py:0:21
	v_mov_b32_e32 v220, 0
	.loc	1 64 21                         ; attention_bwd.py:64:21 @[ attention_bwd.py:200:26 ]
	s_and_b64 vcc, exec, s[0:1]
	s_cbranch_vccz .LBB0_57
.LBB0_42:
	.loc	1 0 21                          ; attention_bwd.py:0:21
	v_mov_b32_e32 v221, 0
	.loc	1 64 21                         ; attention_bwd.py:64:21 @[ attention_bwd.py:200:26 ]
	s_and_b64 vcc, exec, s[0:1]
	s_cbranch_vccz .LBB0_58
.LBB0_43:
	.loc	1 0 21                          ; attention_bwd.py:0:21
	v_mov_b32_e32 v224, 0
	.loc	1 64 21                         ; attention_bwd.py:64:21 @[ attention_bwd.py:200:26 ]
	s_and_b64 vcc, exec, s[0:1]
	s_cbranch_vccz .LBB0_59
.LBB0_44:
	.loc	1 0 21                          ; attention_bwd.py:0:21
	v_mov_b32_e32 v225, 0
	.loc	1 64 21                         ; attention_bwd.py:64:21 @[ attention_bwd.py:200:26 ]
	s_and_b64 vcc, exec, s[0:1]
	s_cbranch_vccz .LBB0_60
.LBB0_45:
	.loc	1 0 21                          ; attention_bwd.py:0:21
	v_mov_b32_e32 v218, 0
	.loc	1 64 21                         ; attention_bwd.py:64:21 @[ attention_bwd.py:200:26 ]
	s_and_b64 vcc, exec, s[0:1]
	s_cbranch_vccz .LBB0_61
.LBB0_46:
	.loc	1 0 21                          ; attention_bwd.py:0:21
	v_mov_b32_e32 v219, 0
	.loc	1 64 21                         ; attention_bwd.py:64:21 @[ attention_bwd.py:200:26 ]
	s_and_b64 vcc, exec, s[0:1]
	s_cbranch_vccz .LBB0_62
.LBB0_47:
	.loc	1 0 21                          ; attention_bwd.py:0:21
	v_mov_b32_e32 v222, 0
	.loc	1 64 21                         ; attention_bwd.py:64:21 @[ attention_bwd.py:200:26 ]
	s_and_b64 vcc, exec, s[0:1]
	s_cbranch_vccz .LBB0_63
.LBB0_48:
	.loc	1 0 21                          ; attention_bwd.py:0:21
	v_mov_b32_e32 v223, 0
	.loc	1 64 21                         ; attention_bwd.py:64:21 @[ attention_bwd.py:200:26 ]
	s_and_b64 vcc, exec, s[0:1]
	s_cbranch_vccz .LBB0_64
.LBB0_49:
	.loc	1 0 21                          ; attention_bwd.py:0:21
	v_mov_b32_e32 v214, 0
	.loc	1 64 21                         ; attention_bwd.py:64:21 @[ attention_bwd.py:200:26 ]
	s_and_b64 vcc, exec, s[0:1]
	s_cbranch_vccz .LBB0_65
.LBB0_50:
	.loc	1 0 21                          ; attention_bwd.py:0:21
	v_mov_b32_e32 v215, 0
	.loc	1 64 21                         ; attention_bwd.py:64:21 @[ attention_bwd.py:200:26 ]
	s_and_b64 vcc, exec, s[0:1]
	s_cbranch_vccz .LBB0_66
.LBB0_51:
	.loc	1 0 21                          ; attention_bwd.py:0:21
	v_mov_b32_e32 v216, 0
	.loc	1 64 21                         ; attention_bwd.py:64:21 @[ attention_bwd.py:200:26 ]
	s_and_b64 vcc, exec, s[0:1]
	s_cbranch_vccz .LBB0_67
.LBB0_52:
	.loc	1 0 21                          ; attention_bwd.py:0:21
	v_mov_b32_e32 v217, 0
	.loc	1 64 21                         ; attention_bwd.py:64:21 @[ attention_bwd.py:200:26 ]
	s_branch .LBB0_68
.LBB0_53:
	.loc	1 0 21                          ; attention_bwd.py:0:21
	v_mov_b32_e32 v227, 0
	.loc	1 64 21                         ; attention_bwd.py:64:21 @[ attention_bwd.py:200:26 ]
	s_and_b64 vcc, exec, s[0:1]
	s_cbranch_vccnz .LBB0_39
.LBB0_54:
	global_load_dword v228, v[66:67], off offset:8
	s_and_b64 vcc, exec, s[0:1]
	s_cbranch_vccnz .LBB0_40
.LBB0_55:
	global_load_dword v229, v[66:67], off offset:12
	s_and_b64 vcc, exec, s[0:1]
	s_cbranch_vccnz .LBB0_41
.LBB0_56:
	global_load_dword v220, v[66:67], off offset:32
	s_and_b64 vcc, exec, s[0:1]
	s_cbranch_vccnz .LBB0_42
.LBB0_57:
	global_load_dword v221, v[66:67], off offset:36
	s_and_b64 vcc, exec, s[0:1]
	s_cbranch_vccnz .LBB0_43
.LBB0_58:
	global_load_dword v224, v[66:67], off offset:40
	s_and_b64 vcc, exec, s[0:1]
	s_cbranch_vccnz .LBB0_44
.LBB0_59:
	global_load_dword v225, v[66:67], off offset:44
	s_and_b64 vcc, exec, s[0:1]
	s_cbranch_vccnz .LBB0_45
.LBB0_60:
	global_load_dword v218, v[66:67], off offset:64
	s_and_b64 vcc, exec, s[0:1]
	s_cbranch_vccnz .LBB0_46
.LBB0_61:
	global_load_dword v219, v[66:67], off offset:68
	s_and_b64 vcc, exec, s[0:1]
	s_cbranch_vccnz .LBB0_47
.LBB0_62:
	global_load_dword v222, v[66:67], off offset:72
	s_and_b64 vcc, exec, s[0:1]
	s_cbranch_vccnz .LBB0_48
.LBB0_63:
	global_load_dword v223, v[66:67], off offset:76
	s_and_b64 vcc, exec, s[0:1]
	s_cbranch_vccnz .LBB0_49
.LBB0_64:
	global_load_dword v214, v[66:67], off offset:96
	s_and_b64 vcc, exec, s[0:1]
	s_cbranch_vccnz .LBB0_50
.LBB0_65:
	global_load_dword v215, v[66:67], off offset:100
	s_and_b64 vcc, exec, s[0:1]
	s_cbranch_vccnz .LBB0_51
.LBB0_66:
	global_load_dword v216, v[66:67], off offset:104
	s_and_b64 vcc, exec, s[0:1]
	s_cbranch_vccnz .LBB0_52
.LBB0_67:
	global_load_dword v217, v[66:67], off offset:108
.Ltmp31:
.LBB0_68:
	.loc	1 148 9 is_stmt 1               ; attention_bwd.py:148:9
	s_add_u32 s63, s6, s50
	s_addc_u32 s64, s7, s51
.Ltmp32:
	.loc	1 41 67                         ; attention_bwd.py:41:67 @[ attention_bwd.py:184:50 ]
	v_mul_lo_u32 v66, s53, v207
.Ltmp33:
	.loc	1 151 10                        ; attention_bwd.py:151:10
	s_add_u32 s61, s14, s50
.Ltmp34:
	.loc	1 41 67                         ; attention_bwd.py:41:67 @[ attention_bwd.py:184:50 ]
	v_add_u32_e32 v70, s60, v66
.Ltmp35:
	.loc	1 151 10                        ; attention_bwd.py:151:10
	s_addc_u32 s62, s15, s51
	.loc	1 171 69                        ; attention_bwd.py:171:69
	s_lshl_b32 s67, s53, 3
	s_mul_i32 s66, s53, 40
	s_mul_i32 s65, s53, 48
.Ltmp36:
	.loc	1 41 56                         ; attention_bwd.py:41:56 @[ attention_bwd.py:184:50 ]
	v_or_b32_e32 v67, 24, v207
	v_or_b32_e32 v69, 56, v207
.Ltmp37:
	.loc	1 41 49 is_stmt 0               ; attention_bwd.py:41:49 @[ attention_bwd.py:200:26 ]
	v_ashrrev_i32_e32 v71, 31, v70
.Ltmp38:
	.loc	1 41 67                         ; attention_bwd.py:41:67 @[ attention_bwd.py:184:50 ]
	v_add_u32_e32 v68, s67, v66
	v_mul_lo_u32 v74, s53, v67
	v_add_u32_e32 v76, s59, v66
	v_add_u32_e32 v78, s66, v66
	;; [unrolled: 1-line block ×3, first 2 shown]
	v_mul_lo_u32 v82, s53, v69
.Ltmp39:
	.loc	1 41 49                         ; attention_bwd.py:41:49 @[ attention_bwd.py:200:26 ]
	v_ashrrev_i32_e32 v67, 31, v66
	v_lshlrev_b64 v[0:1], 1, v[70:71]
	v_lshlrev_b64 v[250:251], 1, v[66:67]
	v_ashrrev_i32_e32 v69, 31, v68
	v_ashrrev_i32_e32 v75, 31, v74
	;; [unrolled: 1-line block ×6, first 2 shown]
	.loc	1 72 28 is_stmt 1               ; attention_bwd.py:72:28 @[ attention_bwd.py:200:26 ]
	s_lshl_b32 s48, s52, 5
	v_or_b32_e32 v66, v194, v73
	v_accvgpr_write_b32 a163, v1
	.loc	1 41 49                         ; attention_bwd.py:41:49 @[ attention_bwd.py:200:26 ]
	v_lshlrev_b64 v[252:253], 1, v[68:69]
	v_lshlrev_b64 v[70:71], 1, v[74:75]
	;; [unrolled: 1-line block ×6, first 2 shown]
	.loc	1 47 25                         ; attention_bwd.py:47:25 @[ attention_bwd.py:200:26 ]
	s_cmp_lt_i32 s5, 64
	v_xor_b32_e32 v254, v66, v240
	v_lshlrev_b32_e32 v249, 5, v125
	v_lshlrev_b32_e32 v239, 10, v84
	;; [unrolled: 1-line block ×3, first 2 shown]
	v_accvgpr_write_b32 a48, v125
	v_accvgpr_write_b32 a51, v153
	v_accvgpr_write_b32 a52, v174
	v_accvgpr_write_b32 a53, v173
	v_accvgpr_write_b32 a58, v180
	v_accvgpr_write_b32 a59, v181
	v_accvgpr_write_b32 a60, v182
	v_accvgpr_write_b32 a62, v184
	v_accvgpr_write_b32 a162, v0
	s_cbranch_scc1 .LBB0_80
; %bb.69:                               ; %.lr.ph
	.loc	1 0 25 is_stmt 0                ; attention_bwd.py:0:25
	v_accvgpr_read_b32 v82, a8
	v_accvgpr_read_b32 v83, a9
	;; [unrolled: 1-line block ×3, first 2 shown]
	v_lshlrev_b32_e32 v82, 11, v82
	v_lshlrev_b32_e32 v83, 3, v83
	.loc	1 47 25                         ; attention_bwd.py:47:25 @[ attention_bwd.py:200:26 ]
	v_add_u32_e32 v68, 0, v67
	v_lshlrev_b32_e32 v67, 4, v241
	v_or3_b32 v66, v82, v83, v66
	v_lshl_or_b32 v69, v248, 5, v254
	v_and_b32_e32 v74, 28, v125
	s_movk_i32 s3, 0x3a0
	v_or3_b32 v72, v66, v72, v67
	v_and_b32_e32 v66, 0x42, v137
	v_or3_b32 v69, v69, v67, v182
	v_and_or_b32 v75, v249, s3, v239
	v_lshlrev_b32_e32 v67, 9, v84
	v_lshl_or_b32 v66, v74, 5, v66
	v_or3_b32 v75, v75, v74, v181
	v_or3_b32 v74, v66, v67, v74
	v_add_u32_e32 v66, 0x9c, v128
	v_mul_lo_u32 v66, s52, v66
	v_ashrrev_i32_e32 v67, 31, v66
	v_lshlrev_b64 v[66:67], 1, v[66:67]
	v_add_co_u32_e32 v66, vcc, v66, v126
	v_addc_co_u32_e32 v67, vcc, v67, v127, vcc
	v_add_co_u32_e32 v82, vcc, s14, v66
	v_add_u32_e32 v66, 0x98, v128
	v_mov_b32_e32 v83, s15
	v_mul_lo_u32 v66, s52, v66
	v_addc_co_u32_e32 v83, vcc, v83, v67, vcc
	v_ashrrev_i32_e32 v67, 31, v66
	v_lshlrev_b64 v[66:67], 1, v[66:67]
	v_add_co_u32_e32 v66, vcc, v66, v126
	v_addc_co_u32_e32 v67, vcc, v67, v127, vcc
	v_add_co_u32_e32 v84, vcc, s14, v66
	v_add_u32_e32 v66, 0x94, v128
	v_mov_b32_e32 v85, s15
	v_mul_lo_u32 v66, s52, v66
	v_addc_co_u32_e32 v85, vcc, v85, v67, vcc
	;; [unrolled: 9-line block ×7, first 2 shown]
	v_ashrrev_i32_e32 v67, 31, v66
	v_lshlrev_b64 v[66:67], 1, v[66:67]
	v_add_co_u32_e32 v66, vcc, v66, v126
	v_addc_co_u32_e32 v67, vcc, v67, v127, vcc
	v_pk_mov_b32 v[106:107], v[96:97], v[96:97] op_sel:[0,1]
	v_add_co_u32_e32 v96, vcc, s14, v66
	v_add_u32_e32 v66, s33, v173
	v_add_u32_e32 v66, 0x80, v66
	v_mov_b32_e32 v97, s15
	v_mul_lo_u32 v66, s52, v66
	v_addc_co_u32_e32 v97, vcc, v97, v67, vcc
	v_ashrrev_i32_e32 v67, 31, v66
	v_lshlrev_b64 v[66:67], 1, v[66:67]
	v_add_co_u32_e32 v98, vcc, v100, v66
	v_accvgpr_write_b32 a173, v101
	v_addc_co_u32_e32 v99, vcc, v101, v67, vcc
	v_accvgpr_write_b32 a172, v100
	v_mov_b32_e32 v100, s7
	v_add_co_u32_e32 v98, vcc, s6, v98
	v_addc_co_u32_e32 v99, vcc, v100, v99, vcc
	v_add_co_u32_e32 v100, vcc, v66, v102
	v_accvgpr_write_b32 a171, v103
	v_addc_co_u32_e32 v101, vcc, v67, v103, vcc
	v_accvgpr_write_b32 a170, v102
	v_mov_b32_e32 v102, s7
	v_add_co_u32_e32 v100, vcc, s6, v100
	v_addc_co_u32_e32 v101, vcc, v102, v101, vcc
	;; [unrolled: 7-line block ×3, first 2 shown]
	v_add_co_u32_e32 v104, vcc, v66, v106
	v_accvgpr_write_b32 a167, v107
	v_addc_co_u32_e32 v105, vcc, v67, v107, vcc
	v_accvgpr_write_b32 a166, v106
	v_mov_b32_e32 v106, s7
	v_add_co_u32_e32 v104, vcc, s6, v104
	v_pk_mov_b32 v[108:109], v[70:71], v[70:71] op_sel:[0,1]
	v_addc_co_u32_e32 v105, vcc, v106, v105, vcc
	v_add_co_u32_e32 v106, vcc, v108, v66
	v_accvgpr_write_b32 a165, v109
	v_addc_co_u32_e32 v107, vcc, v109, v67, vcc
	v_accvgpr_write_b32 a164, v108
	v_mov_b32_e32 v108, s7
	v_add_co_u32_e32 v106, vcc, s6, v106
	v_addc_co_u32_e32 v107, vcc, v108, v107, vcc
	v_xor_b32_e32 v70, 0x108, v69
	v_add_co_u32_e32 v108, vcc, v66, v0
	v_add_u32_e32 v0, 0, v69
	v_xor_b32_e32 v71, 0x210, v69
	v_addc_co_u32_e32 v109, vcc, v67, v1, vcc
	v_accvgpr_write_b32 a180, v0
	v_add_u32_e32 v0, 0, v70
	v_xor_b32_e32 v73, 0x318, v69
	v_mov_b32_e32 v110, s7
	v_add_co_u32_e32 v108, vcc, s6, v108
	v_accvgpr_write_b32 a181, v0
	v_add_u32_e32 v0, 0, v71
	v_addc_co_u32_e32 v109, vcc, v110, v109, vcc
	v_accvgpr_write_b32 a182, v0
	v_add_u32_e32 v0, 0, v73
	v_xor_b32_e32 v76, 4, v75
	v_add_co_u32_e32 v110, vcc, v66, v252
	v_accvgpr_write_b32 a183, v0
	v_add_u32_e32 v0, 0, v75
	v_xor_b32_e32 v77, 8, v75
	v_addc_co_u32_e32 v111, vcc, v67, v253, vcc
	v_accvgpr_write_b32 a184, v0
	v_add_u32_e32 v0, 0, v76
.Ltmp40:
	.loc	1 191 37 is_stmt 1              ; attention_bwd.py:191:37
	s_ashr_i32 s2, s5, 31
	v_xor_b32_e32 v78, 12, v75
.Ltmp41:
	.loc	1 47 25                         ; attention_bwd.py:47:25 @[ attention_bwd.py:200:26 ]
	v_mov_b32_e32 v112, s7
	v_add_co_u32_e32 v110, vcc, s6, v110
	v_accvgpr_write_b32 a185, v0
	v_add_u32_e32 v0, 0, v77
.Ltmp42:
	.loc	1 191 37                        ; attention_bwd.py:191:37
	s_lshr_b32 s2, s2, 27
	v_xor_b32_e32 v79, 16, v75
.Ltmp43:
	.loc	1 47 25                         ; attention_bwd.py:47:25 @[ attention_bwd.py:200:26 ]
	v_addc_co_u32_e32 v111, vcc, v112, v111, vcc
	v_accvgpr_write_b32 a186, v0
	v_add_u32_e32 v0, 0, v78
.Ltmp44:
	.loc	1 191 37                        ; attention_bwd.py:191:37
	s_add_i32 s5, s5, s2
	v_xor_b32_e32 v80, 20, v75
.Ltmp45:
	.loc	1 47 25                         ; attention_bwd.py:47:25 @[ attention_bwd.py:200:26 ]
	v_add_co_u32_e32 v66, vcc, v66, v250
	v_accvgpr_write_b32 a187, v0
	v_add_u32_e32 v0, 0, v79
	v_accvgpr_write_b32 a64, v186
.Ltmp46:
	.loc	1 191 37                        ; attention_bwd.py:191:37
	s_ashr_i32 s2, s5, 5
	v_xor_b32_e32 v81, 24, v75
.Ltmp47:
	.loc	1 47 25                         ; attention_bwd.py:47:25 @[ attention_bwd.py:200:26 ]
	v_addc_co_u32_e32 v67, vcc, v67, v251, vcc
	v_accvgpr_write_b32 a188, v0
	v_add_u32_e32 v0, 0, v80
	v_accvgpr_write_b32 a147, v185
	v_accvgpr_write_b32 a65, v187
	;; [unrolled: 1-line block ×4, first 2 shown]
	v_xor_b32_e32 v118, 28, v75
	v_xor_b32_e32 v119, 4, v72
	;; [unrolled: 1-line block ×15, first 2 shown]
	s_ashr_i32 s49, s48, 31
	s_max_i32 s2, s2, 2
	v_accvgpr_write_b32 a160, v252
	v_accvgpr_write_b32 a158, v250
	v_mov_b32_e32 v113, s7
	v_add_co_u32_e32 v112, vcc, s6, v66
	v_accvgpr_write_b32 a189, v0
	v_add_u32_e32 v0, 0, v81
	v_accvgpr_write_b32 a154, v247
	v_accvgpr_write_b32 a153, v246
	;; [unrolled: 1-line block ×16, first 2 shown]
	s_add_i32 s68, s33, 0xa0
	s_lshl_b64 s[54:55], s[48:49], 1
	v_accvgpr_write_b32 a161, v253
	v_accvgpr_write_b32 a159, v251
	v_addc_co_u32_e32 v113, vcc, v113, v67, vcc
	s_add_i32 s49, s2, -1
	s_mov_b32 s69, 0x5040100
	v_accvgpr_write_b32 a190, v0
	v_add_u32_e32 v173, 0, v118
	v_accvgpr_write_b32 a179, v114
	v_add_u32_e32 v174, v68, v114
	v_add_u32_e32 v175, 0, v72
	;; [unrolled: 1-line block ×17, first 2 shown]
	s_mov_b32 s70, 0x7060302
.LBB0_70:                               ; =>This Inner Loop Header: Depth=1
	.loc	1 71 18                         ; attention_bwd.py:71:18 @[ attention_bwd.py:200:26 ]
	v_mov_b32_e32 v128, s51
	v_add_co_u32_e32 v230, vcc, s50, v98
	v_addc_co_u32_e32 v231, vcc, v99, v128, vcc
	v_add_co_u32_e32 v232, vcc, s50, v100
	v_addc_co_u32_e32 v233, vcc, v101, v128, vcc
	;; [unrolled: 2-line block ×3, first 2 shown]
	v_add_co_u32_e32 v236, vcc, s50, v106
	v_add_co_u32_e64 v242, s[6:7], s50, v112
	v_add_co_u32_e64 v238, s[2:3], s50, v108
	;; [unrolled: 1-line block ×4, first 2 shown]
	v_addc_co_u32_e32 v237, vcc, v107, v128, vcc
	v_addc_co_u32_e64 v243, vcc, v113, v128, s[6:7]
	v_addc_co_u32_e64 v245, s[14:15], v105, v128, s[14:15]
	v_addc_co_u32_e64 v239, vcc, v109, v128, s[2:3]
	v_addc_co_u32_e64 v241, vcc, v111, v128, s[4:5]
	.loc	1 48 21                         ; attention_bwd.py:48:21 @[ attention_bwd.py:200:26 ]
	global_load_ushort v71, v[242:243], off
	global_load_ushort v72, v[240:241], off
	;; [unrolled: 1-line block ×8, first 2 shown]
	.loc	1 51 24                         ; attention_bwd.py:51:24 @[ attention_bwd.py:200:26 ]
	v_add_u32_e32 v66, s68, v124
	s_ashr_i32 s16, s68, 31
	v_ashrrev_i32_e32 v67, 31, v66
	v_mov_b32_e32 v69, s16
	v_add_co_u32_e32 v68, vcc, s68, v124
	v_lshlrev_b64 v[206:207], 2, v[66:67]
	v_addc_co_u32_e32 v69, vcc, 0, v69, vcc
	v_mov_b32_e32 v70, s58
	v_add_co_u32_e32 v66, vcc, s57, v206
	v_addc_co_u32_e32 v67, vcc, v70, v207, vcc
	v_lshlrev_b64 v[208:209], 2, v[68:69]
	v_add_co_u32_e32 v68, vcc, s57, v208
	v_addc_co_u32_e32 v69, vcc, v70, v209, vcc
	v_accvgpr_read_b32 v0, a180
	.loc	1 69 35                         ; attention_bwd.py:69:35 @[ attention_bwd.py:200:26 ]
	s_waitcnt lgkmcnt(0)
	s_barrier
	.loc	1 71 18                         ; attention_bwd.py:71:18 @[ attention_bwd.py:200:26 ]
	v_add_co_u32_e32 v246, vcc, s50, v84
	v_add_co_u32_e64 v192, s[18:19], s50, v96
	v_add_co_u32_e64 v248, s[2:3], s50, v86
	;; [unrolled: 1-line block ×5, first 2 shown]
	v_addc_co_u32_e32 v247, vcc, v85, v128, vcc
	v_addc_co_u32_e64 v193, vcc, v97, v128, s[18:19]
	v_addc_co_u32_e64 v251, s[20:21], v83, v128, s[20:21]
	v_addc_co_u32_e64 v249, vcc, v87, v128, s[2:3]
	v_addc_co_u32_e64 v253, vcc, v89, v128, s[4:5]
	;; [unrolled: 1-line block ×3, first 2 shown]
	v_accvgpr_write_b32 a178, v124
	.loc	1 47 25                         ; attention_bwd.py:47:25 @[ attention_bwd.py:200:26 ]
	v_add_co_u32_e64 v84, s[18:19], s54, v84
	v_add_co_u32_e64 v86, s[20:21], s54, v86
	;; [unrolled: 1-line block ×11, first 2 shown]
	s_add_i32 s49, s49, -1
	s_add_i32 s68, s68, 32
	s_cmp_lg_u32 s49, 0
	.loc	1 69 35                         ; attention_bwd.py:69:35 @[ attention_bwd.py:200:26 ]
	s_waitcnt vmcnt(3)
	v_perm_b32 v70, v75, v71, s69
	s_waitcnt vmcnt(2)
	v_perm_b32 v79, v76, v72, s69
	ds_write_b32 v0, v70
	v_accvgpr_read_b32 v0, a181
	s_waitcnt vmcnt(1)
	v_perm_b32 v80, v77, v73, s69
	ds_write_b32 v0, v79
	v_accvgpr_read_b32 v0, a182
	;; [unrolled: 4-line block ×3, first 2 shown]
	ds_write_b32 v0, v81
	v_accvgpr_read_b32 v0, a184
	s_waitcnt lgkmcnt(0)
	s_barrier
	ds_read2st64_b32 v[210:211], v0 offset1:4
	v_accvgpr_read_b32 v0, a185
	ds_read2st64_b32 v[120:121], v0 offset1:4
	v_accvgpr_read_b32 v0, a186
	;; [unrolled: 2-line block ×6, first 2 shown]
	ds_read2st64_b32 v[194:195], v0 offset1:4
	ds_read2st64_b32 v[196:197], v173 offset1:4
	.loc	1 51 20                         ; attention_bwd.py:51:20 @[ attention_bwd.py:200:26 ]
	global_load_dword a15, v[66:67], off
	global_load_dwordx3 a[12:14], v[68:69], off offset:4
	global_load_dwordx4 a[0:3], v[68:69], off offset:32
	global_load_dwordx4 a[4:7], v[68:69], off offset:64
	;; [unrolled: 1-line block ×3, first 2 shown]
	.loc	1 48 21                         ; attention_bwd.py:48:21 @[ attention_bwd.py:200:26 ]
	s_waitcnt lgkmcnt(0)
	s_barrier
	ds_write_b16 v162, v71
	ds_write_b16 v162, v72 offset:512
	ds_write_b16 v162, v73 offset:1024
	;; [unrolled: 1-line block ×7, first 2 shown]
	s_waitcnt lgkmcnt(0)
	s_barrier
	ds_read_u16 v66, v174
	ds_read_u16 v67, v174 offset:64
	ds_read_u16 v68, v174 offset:128
	;; [unrolled: 1-line block ×7, first 2 shown]
	.loc	1 52 24                         ; attention_bwd.py:52:24 @[ attention_bwd.py:200:26 ]
	s_waitcnt lgkmcnt(4)
	v_perm_b32 v189, v69, v68, s69
	v_perm_b32 v188, v67, v66, s69
	s_nop 1
	v_mfma_f32_32x32x8f16 v[66:81], v[188:189], a[46:47], 0
	s_waitcnt lgkmcnt(0)
	v_perm_b32 v189, v149, v148, s69
	v_perm_b32 v188, v137, v129, s69
	.loc	1 48 21                         ; attention_bwd.py:48:21 @[ attention_bwd.py:200:26 ]
	ds_read_u16 v129, v174 offset:1152
	ds_read_u16 v137, v174 offset:1216
	.loc	1 52 24                         ; attention_bwd.py:52:24 @[ attention_bwd.py:200:26 ]
	v_mfma_f32_32x32x8f16 v[66:81], v[188:189], a[44:45], v[66:81]
	.loc	1 48 21                         ; attention_bwd.py:48:21 @[ attention_bwd.py:200:26 ]
	ds_read_u16 v148, v174 offset:1536
	ds_read_u16 v149, v174 offset:1600
	;; [unrolled: 1-line block ×5, first 2 shown]
	.loc	1 52 24                         ; attention_bwd.py:52:24 @[ attention_bwd.py:200:26 ]
	s_waitcnt lgkmcnt(5)
	v_perm_b32 v189, v137, v129, s69
	.loc	1 48 21                         ; attention_bwd.py:48:21 @[ attention_bwd.py:200:26 ]
	ds_read_u16 v129, v174 offset:1024
	.loc	1 52 24                         ; attention_bwd.py:52:24 @[ attention_bwd.py:200:26 ]
	s_waitcnt lgkmcnt(0)
	v_perm_b32 v188, v188, v129, s69
	.loc	1 48 21                         ; attention_bwd.py:48:21 @[ attention_bwd.py:200:26 ]
	ds_read_u16 v129, v174 offset:2176
	ds_read_u16 v137, v174 offset:2240
	.loc	1 52 24                         ; attention_bwd.py:52:24 @[ attention_bwd.py:200:26 ]
	v_mfma_f32_32x32x8f16 v[66:81], v[188:189], a[42:43], v[66:81]
	v_perm_b32 v189, v191, v190, s69
	v_perm_b32 v188, v149, v148, s69
	s_nop 1
	v_mfma_f32_32x32x8f16 v[66:81], v[188:189], a[38:39], v[66:81]
	.loc	1 48 21                         ; attention_bwd.py:48:21 @[ attention_bwd.py:200:26 ]
	ds_read_u16 v148, v174 offset:2560
	ds_read_u16 v149, v174 offset:2624
	;; [unrolled: 1-line block ×5, first 2 shown]
	.loc	1 52 24                         ; attention_bwd.py:52:24 @[ attention_bwd.py:200:26 ]
	s_waitcnt lgkmcnt(5)
	v_perm_b32 v189, v137, v129, s69
	.loc	1 48 21                         ; attention_bwd.py:48:21 @[ attention_bwd.py:200:26 ]
	ds_read_u16 v129, v174 offset:2048
	.loc	1 52 24                         ; attention_bwd.py:52:24 @[ attention_bwd.py:200:26 ]
	s_waitcnt lgkmcnt(0)
	v_perm_b32 v188, v188, v129, s69
	.loc	1 48 21                         ; attention_bwd.py:48:21 @[ attention_bwd.py:200:26 ]
	ds_read_u16 v129, v174 offset:3200
	ds_read_u16 v137, v174 offset:3264
	.loc	1 52 24                         ; attention_bwd.py:52:24 @[ attention_bwd.py:200:26 ]
	v_mfma_f32_32x32x8f16 v[66:81], v[188:189], a[40:41], v[66:81]
	v_perm_b32 v189, v191, v190, s69
	v_perm_b32 v188, v149, v148, s69
	s_nop 1
	v_mfma_f32_32x32x8f16 v[66:81], v[188:189], a[36:37], v[66:81]
	.loc	1 48 21                         ; attention_bwd.py:48:21 @[ attention_bwd.py:200:26 ]
	ds_read_u16 v148, v174 offset:3584
	ds_read_u16 v149, v174 offset:3648
	;; [unrolled: 1-line block ×5, first 2 shown]
	.loc	1 52 24                         ; attention_bwd.py:52:24 @[ attention_bwd.py:200:26 ]
	s_waitcnt lgkmcnt(5)
	v_perm_b32 v189, v137, v129, s69
	.loc	1 48 21                         ; attention_bwd.py:48:21 @[ attention_bwd.py:200:26 ]
	ds_read_u16 v129, v174 offset:3072
	.loc	1 52 24                         ; attention_bwd.py:52:24 @[ attention_bwd.py:200:26 ]
	s_waitcnt lgkmcnt(0)
	v_perm_b32 v188, v188, v129, s69
	s_nop 1
	v_mfma_f32_32x32x8f16 v[66:81], v[188:189], a[34:35], v[66:81]
	v_perm_b32 v189, v191, v190, s69
	v_perm_b32 v188, v149, v148, s69
	.loc	1 71 18                         ; attention_bwd.py:71:18 @[ attention_bwd.py:200:26 ]
	v_add_co_u32_e64 v190, s[16:17], s50, v94
	v_addc_co_u32_e64 v191, vcc, v95, v128, s[16:17]
	.loc	1 47 25                         ; attention_bwd.py:47:25 @[ attention_bwd.py:200:26 ]
	v_add_co_u32_e64 v82, s[16:17], s54, v82
	v_add_co_u32_e64 v94, s[28:29], s54, v94
	.loc	1 52 24                         ; attention_bwd.py:52:24 @[ attention_bwd.py:200:26 ]
	v_mfma_f32_32x32x8f16 v[66:81], v[188:189], a[32:33], v[66:81]
	.loc	1 71 18                         ; attention_bwd.py:71:18 @[ attention_bwd.py:200:26 ]
	v_add_co_u32_e64 v188, s[14:15], s50, v92
	v_addc_co_u32_e64 v189, vcc, v93, v128, s[14:15]
	.loc	1 47 25                         ; attention_bwd.py:47:25 @[ attention_bwd.py:200:26 ]
	v_add_co_u32_e64 v92, s[26:27], s54, v92
	v_add_co_u32_e64 v104, s[14:15], s54, v104
	.loc	1 53 32                         ; attention_bwd.py:53:32 @[ attention_bwd.py:200:26 ]
	s_nop 14
	v_sub_f32_e32 v129, v66, v151
	v_sub_f32_e32 v137, v67, v141
	;; [unrolled: 1-line block ×7, first 2 shown]
	.loc	1 58 21                         ; attention_bwd.py:58:21 @[ attention_bwd.py:200:26 ]
	global_load_ushort v66, v[192:193], off
	global_load_ushort v67, v[190:191], off
	;; [unrolled: 1-line block ×8, first 2 shown]
	.loc	1 53 32                         ; attention_bwd.py:53:32 @[ attention_bwd.py:200:26 ]
	v_sub_f32_e32 v75, v75, v140
	.loc	1 53 26 is_stmt 0               ; attention_bwd.py:53:26 @[ attention_bwd.py:200:26 ]
	v_exp_f32_e32 v140, v68
	v_exp_f32_e32 v141, v69
	.loc	1 53 32                         ; attention_bwd.py:53:32 @[ attention_bwd.py:200:26 ]
	v_sub_f32_e32 v80, v80, v147
	v_sub_f32_e32 v81, v81, v146
	.loc	1 66 33 is_stmt 1               ; attention_bwd.py:66:33 @[ attention_bwd.py:200:26 ]
	s_waitcnt lgkmcnt(0)
	s_barrier
	.loc	1 53 32                         ; attention_bwd.py:53:32 @[ attention_bwd.py:200:26 ]
	v_sub_f32_e32 v76, v76, v143
	v_sub_f32_e32 v79, v79, v142
	.loc	1 53 26 is_stmt 0               ; attention_bwd.py:53:26 @[ attention_bwd.py:200:26 ]
	v_exp_f32_e32 v142, v129
	v_exp_f32_e32 v143, v137
	.loc	1 61 21 is_stmt 1               ; attention_bwd.py:61:21 @[ attention_bwd.py:200:26 ]
	v_cvt_f16_f32_e32 v68, v140
	v_cvt_f16_f32_e32 v69, v141
	.loc	1 53 32                         ; attention_bwd.py:53:32 @[ attention_bwd.py:200:26 ]
	v_sub_f32_e32 v73, v73, v135
	.loc	1 61 21                         ; attention_bwd.py:61:21 @[ attention_bwd.py:200:26 ]
	v_cvt_f16_f32_e32 v129, v143
	.loc	1 53 32                         ; attention_bwd.py:53:32 @[ attention_bwd.py:200:26 ]
	v_sub_f32_e32 v74, v74, v136
	.loc	1 62 26                         ; attention_bwd.py:62:26 @[ attention_bwd.py:200:26 ]
	v_pack_b32_f16 v69, v68, v69
	.loc	1 61 21                         ; attention_bwd.py:61:21 @[ attention_bwd.py:200:26 ]
	v_cvt_f16_f32_e32 v68, v142
	.loc	1 53 26                         ; attention_bwd.py:53:26 @[ attention_bwd.py:200:26 ]
	v_exp_f32_e32 v136, v72
	v_exp_f32_e32 v137, v73
	.loc	1 66 33                         ; attention_bwd.py:66:33 @[ attention_bwd.py:200:26 ]
	s_waitcnt vmcnt(7)
	ds_write_b16 v175, v66
	s_waitcnt vmcnt(6)
	ds_write_b16 v176, v67 offset:128
	s_waitcnt vmcnt(5)
	ds_write_b16 v177, v128 offset:256
	;; [unrolled: 2-line block ×7, first 2 shown]
	s_waitcnt lgkmcnt(0)
	s_barrier
	ds_read_u16 v146, v183 offset:2048
	ds_read_u16 v148, v183
	ds_read_u16 v151, v183 offset:2080
	ds_read_u16 v147, v184 offset:2048
	ds_read_u16 v149, v184
	ds_read_u16 v116, v184 offset:2080
	ds_read_u16 v1, v184 offset:32
	ds_read_u16 v0, v183 offset:32
	ds_read_u16 v115, v185 offset:2048
	ds_read_u16 v153, v185
	ds_read_u16 v125, v185 offset:2080
	ds_read_u16 v156, v186 offset:2048
	ds_read_u16 v157, v186
	ds_read_u16 v158, v186 offset:2080
	ds_read_u16 v159, v186 offset:32
	ds_read_u16 v160, v185 offset:32
	;; [unrolled: 8-line block ×4, first 2 shown]
	.loc	1 58 21                         ; attention_bwd.py:58:21 @[ attention_bwd.py:200:26 ]
	s_waitcnt lgkmcnt(0)
	s_barrier
	ds_write_b16 v162, v66
	ds_write_b16 v162, v67 offset:512
	ds_write_b16 v162, v128 offset:1024
	;; [unrolled: 1-line block ×7, first 2 shown]
	s_waitcnt lgkmcnt(0)
	s_barrier
	ds_read_u16 v66, v150 offset:256
	ds_read_u16 v67, v150 offset:384
	;; [unrolled: 1-line block ×5, first 2 shown]
	.loc	1 62 26                         ; attention_bwd.py:62:26 @[ attention_bwd.py:200:26 ]
	v_pack_b32_f16 v68, v68, v129
	s_waitcnt lgkmcnt(3)
	v_perm_b32 v67, v67, v66, s69
	.loc	1 58 21                         ; attention_bwd.py:58:21 @[ attention_bwd.py:200:26 ]
	ds_read_u16 v66, v150 offset:128
	ds_read_u16 v132, v150
	ds_read_u16 v133, v150 offset:64
	.loc	1 53 32                         ; attention_bwd.py:53:32 @[ attention_bwd.py:200:26 ]
	v_sub_f32_e32 v77, v77, v139
	v_sub_f32_e32 v78, v78, v138
	.loc	1 53 26 is_stmt 0               ; attention_bwd.py:53:26 @[ attention_bwd.py:200:26 ]
	v_exp_f32_e32 v138, v70
	.loc	1 62 26 is_stmt 1               ; attention_bwd.py:62:26 @[ attention_bwd.py:200:26 ]
	s_waitcnt lgkmcnt(1)
	v_perm_b32 v66, v66, v132, s69
	.loc	1 53 26                         ; attention_bwd.py:53:26 @[ attention_bwd.py:200:26 ]
	v_exp_f32_e32 v139, v71
	v_exp_f32_e32 v132, v76
	.loc	1 62 26                         ; attention_bwd.py:62:26 @[ attention_bwd.py:200:26 ]
	v_mfma_f32_32x32x8f16 v[34:49], v[66:67], v[68:69], v[34:49]
	v_perm_b32 v67, v128, v130, s69
	s_waitcnt lgkmcnt(0)
	v_perm_b32 v66, v131, v133, s69
	.loc	1 61 21                         ; attention_bwd.py:61:21 @[ attention_bwd.py:200:26 ]
	v_cvt_f16_f32_e32 v70, v139
	.loc	1 53 26                         ; attention_bwd.py:53:26 @[ attention_bwd.py:200:26 ]
	v_exp_f32_e32 v133, v77
	v_exp_f32_e32 v134, v74
	v_exp_f32_e32 v135, v75
	.loc	1 66 24                         ; attention_bwd.py:66:24 @[ attention_bwd.py:200:26 ]
	v_perm_b32 v147, v147, v149, s69
	v_perm_b32 v146, v146, v148, s69
	;; [unrolled: 1-line block ×3, first 2 shown]
	.loc	1 61 21                         ; attention_bwd.py:61:21 @[ attention_bwd.py:200:26 ]
	v_cvt_f16_f32_e32 v74, v135
	.loc	1 66 24                         ; attention_bwd.py:66:24 @[ attention_bwd.py:200:26 ]
	v_perm_b32 v148, v115, v153, s69
	.loc	1 62 26                         ; attention_bwd.py:62:26 @[ attention_bwd.py:200:26 ]
	v_mfma_f32_32x32x8f16 v[50:65], v[66:67], v[68:69], v[50:65]
	.loc	1 58 21                         ; attention_bwd.py:58:21 @[ attention_bwd.py:200:26 ]
	ds_read_u16 v66, v150 offset:1280
	ds_read_u16 v67, v150 offset:1408
	;; [unrolled: 1-line block ×5, first 2 shown]
	.loc	1 61 21                         ; attention_bwd.py:61:21 @[ attention_bwd.py:200:26 ]
	v_cvt_f16_f32_e32 v69, v137
	.loc	1 62 26                         ; attention_bwd.py:62:26 @[ attention_bwd.py:200:26 ]
	s_waitcnt lgkmcnt(3)
	v_perm_b32 v67, v67, v66, s69
	.loc	1 58 21                         ; attention_bwd.py:58:21 @[ attention_bwd.py:200:26 ]
	ds_read_u16 v66, v150 offset:1152
	ds_read_u16 v68, v150 offset:1024
	;; [unrolled: 1-line block ×3, first 2 shown]
	.loc	1 62 26                         ; attention_bwd.py:62:26 @[ attention_bwd.py:200:26 ]
	s_waitcnt lgkmcnt(1)
	v_perm_b32 v66, v66, v68, s69
	.loc	1 61 21                         ; attention_bwd.py:61:21 @[ attention_bwd.py:200:26 ]
	v_cvt_f16_f32_e32 v68, v136
	.loc	1 62 26                         ; attention_bwd.py:62:26 @[ attention_bwd.py:200:26 ]
	v_pack_b32_f16 v69, v68, v69
	.loc	1 61 21                         ; attention_bwd.py:61:21 @[ attention_bwd.py:200:26 ]
	v_cvt_f16_f32_e32 v68, v138
	.loc	1 62 26                         ; attention_bwd.py:62:26 @[ attention_bwd.py:200:26 ]
	v_pack_b32_f16 v68, v68, v70
	s_nop 1
	v_mfma_f32_32x32x8f16 v[34:49], v[66:67], v[68:69], v[34:49]
	v_perm_b32 v67, v128, v129, s69
	s_waitcnt lgkmcnt(0)
	v_perm_b32 v66, v130, v131, s69
	.loc	1 53 26                         ; attention_bwd.py:53:26 @[ attention_bwd.py:200:26 ]
	v_exp_f32_e32 v128, v80
	v_exp_f32_e32 v129, v81
	;; [unrolled: 1-line block ×4, first 2 shown]
	.loc	1 62 26                         ; attention_bwd.py:62:26 @[ attention_bwd.py:200:26 ]
	v_mfma_f32_32x32x8f16 v[50:65], v[66:67], v[68:69], v[50:65]
	.loc	1 58 21                         ; attention_bwd.py:58:21 @[ attention_bwd.py:200:26 ]
	ds_read_u16 v66, v150 offset:2304
	ds_read_u16 v67, v150 offset:2432
	;; [unrolled: 1-line block ×5, first 2 shown]
	.loc	1 61 21                         ; attention_bwd.py:61:21 @[ attention_bwd.py:200:26 ]
	v_cvt_f16_f32_e32 v69, v133
	.loc	1 62 26                         ; attention_bwd.py:62:26 @[ attention_bwd.py:200:26 ]
	s_waitcnt lgkmcnt(3)
	v_perm_b32 v67, v67, v66, s69
	.loc	1 58 21                         ; attention_bwd.py:58:21 @[ attention_bwd.py:200:26 ]
	ds_read_u16 v66, v150 offset:2176
	ds_read_u16 v68, v150 offset:2048
	;; [unrolled: 1-line block ×3, first 2 shown]
	.loc	1 62 26                         ; attention_bwd.py:62:26 @[ attention_bwd.py:200:26 ]
	s_waitcnt lgkmcnt(1)
	v_perm_b32 v66, v66, v68, s69
	.loc	1 61 21                         ; attention_bwd.py:61:21 @[ attention_bwd.py:200:26 ]
	v_cvt_f16_f32_e32 v68, v132
	.loc	1 62 26                         ; attention_bwd.py:62:26 @[ attention_bwd.py:200:26 ]
	v_pack_b32_f16 v69, v68, v69
	.loc	1 61 21                         ; attention_bwd.py:61:21 @[ attention_bwd.py:200:26 ]
	v_cvt_f16_f32_e32 v68, v134
	.loc	1 62 26                         ; attention_bwd.py:62:26 @[ attention_bwd.py:200:26 ]
	v_pack_b32_f16 v68, v68, v74
	s_nop 1
	v_mfma_f32_32x32x8f16 v[34:49], v[66:67], v[68:69], v[34:49]
	v_perm_b32 v67, v70, v71, s69
	s_waitcnt lgkmcnt(0)
	v_perm_b32 v66, v72, v73, s69
	.loc	1 61 21                         ; attention_bwd.py:61:21 @[ attention_bwd.py:200:26 ]
	v_cvt_f16_f32_e32 v74, v131
	.loc	1 62 26                         ; attention_bwd.py:62:26 @[ attention_bwd.py:200:26 ]
	s_nop 0
	v_mfma_f32_32x32x8f16 v[50:65], v[66:67], v[68:69], v[50:65]
	.loc	1 58 21                         ; attention_bwd.py:58:21 @[ attention_bwd.py:200:26 ]
	ds_read_u16 v66, v150 offset:3328
	ds_read_u16 v67, v150 offset:3456
	;; [unrolled: 1-line block ×5, first 2 shown]
	.loc	1 61 21                         ; attention_bwd.py:61:21 @[ attention_bwd.py:200:26 ]
	v_cvt_f16_f32_e32 v69, v129
	.loc	1 62 26                         ; attention_bwd.py:62:26 @[ attention_bwd.py:200:26 ]
	s_waitcnt lgkmcnt(3)
	v_perm_b32 v67, v67, v66, s69
	.loc	1 58 21                         ; attention_bwd.py:58:21 @[ attention_bwd.py:200:26 ]
	ds_read_u16 v66, v150 offset:3200
	ds_read_u16 v68, v150 offset:3072
	ds_read_u16 v73, v150 offset:3136
	.loc	1 62 26                         ; attention_bwd.py:62:26 @[ attention_bwd.py:200:26 ]
	s_waitcnt lgkmcnt(1)
	v_perm_b32 v66, v66, v68, s69
	.loc	1 61 21                         ; attention_bwd.py:61:21 @[ attention_bwd.py:200:26 ]
	v_cvt_f16_f32_e32 v68, v128
	.loc	1 62 26                         ; attention_bwd.py:62:26 @[ attention_bwd.py:200:26 ]
	v_pack_b32_f16 v69, v68, v69
	.loc	1 61 21                         ; attention_bwd.py:61:21 @[ attention_bwd.py:200:26 ]
	v_cvt_f16_f32_e32 v68, v130
	.loc	1 62 26                         ; attention_bwd.py:62:26 @[ attention_bwd.py:200:26 ]
	v_pack_b32_f16 v68, v68, v74
	s_nop 1
	v_mfma_f32_32x32x8f16 v[34:49], v[66:67], v[68:69], v[34:49]
	v_perm_b32 v67, v70, v71, s69
	s_waitcnt lgkmcnt(0)
	v_perm_b32 v66, v72, v73, s69
	s_nop 1
	v_mfma_f32_32x32x8f16 v[50:65], v[66:67], v[68:69], v[50:65]
	.loc	1 66 24                         ; attention_bwd.py:66:24 @[ attention_bwd.py:200:26 ]
	v_mfma_f32_32x32x8f16 v[66:81], v[146:147], a[30:31], 0
	v_perm_b32 v147, v212, v152, s69
	v_perm_b32 v146, v161, v114, s69
	v_mfma_f32_32x32x8f16 v[66:81], v[148:149], a[28:29], v[66:81]
	s_nop 0
	v_mfma_f32_32x32x8f16 v[66:81], v[146:147], a[26:27], v[66:81]
	v_perm_b32 v147, v168, v169, s69
	v_perm_b32 v146, v165, v166, s69
	s_nop 1
	v_mfma_f32_32x32x8f16 v[66:81], v[146:147], a[24:25], v[66:81]
	v_perm_b32 v147, v116, v1, s69
	v_perm_b32 v146, v151, v0, s69
	v_accvgpr_read_b32 v151, a15
	s_nop 0
	v_mfma_f32_32x32x8f16 v[66:81], v[146:147], a[22:23], v[66:81]
	v_perm_b32 v147, v158, v159, s69
	v_perm_b32 v146, v125, v160, s69
	s_nop 1
	v_mfma_f32_32x32x8f16 v[66:81], v[146:147], a[20:21], v[66:81]
	v_perm_b32 v147, v144, v145, s69
	v_perm_b32 v146, v124, v164, s69
	v_accvgpr_read_b32 v124, a178
	s_nop 0
	v_mfma_f32_32x32x8f16 v[66:81], v[146:147], a[18:19], v[66:81]
	v_perm_b32 v147, v170, v171, s69
	v_perm_b32 v146, v167, v172, s69
	s_nop 1
	v_mfma_f32_32x32x8f16 v[66:81], v[146:147], a[16:17], v[66:81]
	v_accvgpr_read_b32 v146, a11
	v_accvgpr_read_b32 v147, a10
	.loc	1 67 26                         ; attention_bwd.py:67:26 @[ attention_bwd.py:200:26 ]
	s_nop 15
	s_nop 0
	v_pk_add_f32 v[66:67], v[66:67], v[226:227] neg_lo:[0,1] neg_hi:[0,1]
	v_pk_add_f32 v[68:69], v[68:69], v[228:229] neg_lo:[0,1] neg_hi:[0,1]
	.loc	1 67 20 is_stmt 0               ; attention_bwd.py:67:20 @[ attention_bwd.py:200:26 ]
	v_pk_mul_f32 v[66:67], v[142:143], v[66:67]
	v_pk_mul_f32 v[68:69], v[140:141], v[68:69]
	.loc	1 68 21 is_stmt 1               ; attention_bwd.py:68:21 @[ attention_bwd.py:200:26 ]
	v_cvt_f16_f32_e32 v1, v68
	v_cvt_f16_f32_e32 v68, v67
	;; [unrolled: 1-line block ×4, first 2 shown]
	.loc	1 69 26                         ; attention_bwd.py:69:26 @[ attention_bwd.py:200:26 ]
	v_perm_b32 v69, v121, v120, s69
	.loc	1 67 26                         ; attention_bwd.py:67:26 @[ attention_bwd.py:200:26 ]
	v_pk_add_f32 v[70:71], v[70:71], v[220:221] neg_lo:[0,1] neg_hi:[0,1]
	.loc	1 69 26                         ; attention_bwd.py:69:26 @[ attention_bwd.py:200:26 ]
	v_pack_b32_f16 v66, v66, v68
	v_perm_b32 v68, v211, v210, s69
	v_pack_b32_f16 v67, v1, v0
	.loc	1 64 25                         ; attention_bwd.py:64:25 @[ attention_bwd.py:200:26 ]
	v_mov_b32_e32 v0, s56
	.loc	1 67 26                         ; attention_bwd.py:67:26 @[ attention_bwd.py:200:26 ]
	v_pk_add_f32 v[72:73], v[72:73], v[224:225] neg_lo:[0,1] neg_hi:[0,1]
	.loc	1 69 26                         ; attention_bwd.py:69:26 @[ attention_bwd.py:200:26 ]
	v_mfma_f32_32x32x8f16 v[18:33], v[68:69], v[66:67], v[18:33]
	v_perm_b32 v68, v211, v210, s70
	v_perm_b32 v69, v121, v120, s70
	.loc	1 67 20                         ; attention_bwd.py:67:20 @[ attention_bwd.py:200:26 ]
	v_pk_mul_f32 v[70:71], v[138:139], v[70:71]
	v_pk_mul_f32 v[72:73], v[136:137], v[72:73]
	.loc	1 69 26                         ; attention_bwd.py:69:26 @[ attention_bwd.py:200:26 ]
	v_perm_b32 v120, v205, v204, s69
	v_perm_b32 v121, v203, v202, s69
	.loc	1 68 21                         ; attention_bwd.py:68:21 @[ attention_bwd.py:200:26 ]
	v_cvt_f16_f32_e32 v1, v71
	v_cvt_f16_f32_e32 v71, v73
	;; [unrolled: 1-line block ×4, first 2 shown]
	.loc	1 69 26                         ; attention_bwd.py:69:26 @[ attention_bwd.py:200:26 ]
	v_perm_b32 v140, v205, v204, s70
	v_perm_b32 v141, v203, v202, s70
	v_pack_b32_f16 v71, v72, v71
	v_pack_b32_f16 v70, v70, v1
	.loc	1 67 26                         ; attention_bwd.py:67:26 @[ attention_bwd.py:200:26 ]
	v_pk_add_f32 v[72:73], v[80:81], v[216:217] neg_lo:[0,1] neg_hi:[0,1]
	.loc	1 69 26                         ; attention_bwd.py:69:26 @[ attention_bwd.py:200:26 ]
	v_mfma_f32_32x32x8f16 v[2:17], v[68:69], v[66:67], v[2:17]
	.loc	1 64 25                         ; attention_bwd.py:64:25 @[ attention_bwd.py:200:26 ]
	v_add_co_u32_e32 v66, vcc, s13, v206
	v_addc_co_u32_e32 v67, vcc, v0, v207, vcc
	v_add_co_u32_e32 v68, vcc, s13, v208
	v_addc_co_u32_e32 v69, vcc, v0, v209, vcc
	.loc	1 64 21 is_stmt 0               ; attention_bwd.py:64:21 @[ attention_bwd.py:200:26 ]
	global_load_dwordx3 v[114:116], v[68:69], off offset:4
	global_load_dwordx4 v[156:159], v[68:69], off offset:32
	global_load_dwordx4 v[164:167], v[68:69], off offset:64
	;; [unrolled: 1-line block ×3, first 2 shown]
	global_load_dword v226, v[66:67], off
	.loc	1 67 26 is_stmt 1               ; attention_bwd.py:67:26 @[ attention_bwd.py:200:26 ]
	v_pk_add_f32 v[68:69], v[74:75], v[218:219] neg_lo:[0,1] neg_hi:[0,1]
	.loc	1 67 20 is_stmt 0               ; attention_bwd.py:67:20 @[ attention_bwd.py:200:26 ]
	v_pk_mul_f32 v[68:69], v[134:135], v[68:69]
	.loc	1 69 26 is_stmt 1               ; attention_bwd.py:69:26 @[ attention_bwd.py:200:26 ]
	v_perm_b32 v66, v199, v198, s69
	v_perm_b32 v67, v201, v200, s69
	.loc	1 68 21                         ; attention_bwd.py:68:21 @[ attention_bwd.py:200:26 ]
	v_cvt_f16_f32_e32 v1, v69
	v_cvt_f16_f32_e32 v68, v68
	.loc	1 69 26                         ; attention_bwd.py:69:26 @[ attention_bwd.py:200:26 ]
	v_mfma_f32_32x32x8f16 v[18:33], v[120:121], v[70:71], v[18:33]
	.loc	1 47 25                         ; attention_bwd.py:47:25 @[ attention_bwd.py:200:26 ]
	v_mov_b32_e32 v0, s55
	v_add_co_u32_e32 v106, vcc, s54, v106
	.loc	1 69 26                         ; attention_bwd.py:69:26 @[ attention_bwd.py:200:26 ]
	v_pack_b32_f16 v68, v68, v1
	.loc	1 67 20                         ; attention_bwd.py:67:20 @[ attention_bwd.py:200:26 ]
	v_pk_mul_f32 v[72:73], v[128:129], v[72:73]
	.loc	1 47 25                         ; attention_bwd.py:47:25 @[ attention_bwd.py:200:26 ]
	v_addc_co_u32_e64 v83, s[16:17], v83, v0, s[16:17]
	v_addc_co_u32_e64 v85, s[16:17], v85, v0, s[18:19]
	;; [unrolled: 1-line block ×5, first 2 shown]
	.loc	1 69 26                         ; attention_bwd.py:69:26 @[ attention_bwd.py:200:26 ]
	v_mfma_f32_32x32x8f16 v[2:17], v[140:141], v[70:71], v[2:17]
	.loc	1 67 26                         ; attention_bwd.py:67:26 @[ attention_bwd.py:200:26 ]
	v_pk_add_f32 v[70:71], v[76:77], v[222:223] neg_lo:[0,1] neg_hi:[0,1]
	.loc	1 67 20 is_stmt 0               ; attention_bwd.py:67:20 @[ attention_bwd.py:200:26 ]
	v_pk_mul_f32 v[70:71], v[132:133], v[70:71]
	.loc	1 68 21 is_stmt 1               ; attention_bwd.py:68:21 @[ attention_bwd.py:200:26 ]
	v_cvt_f16_f32_e32 v69, v71
	v_cvt_f16_f32_e32 v70, v70
	.loc	1 47 25                         ; attention_bwd.py:47:25 @[ attention_bwd.py:200:26 ]
	v_addc_co_u32_e64 v93, s[16:17], v93, v0, s[26:27]
	v_addc_co_u32_e64 v95, s[16:17], v95, v0, s[28:29]
	.loc	1 69 26                         ; attention_bwd.py:69:26 @[ attention_bwd.py:200:26 ]
	v_pack_b32_f16 v69, v70, v69
	.loc	1 47 25                         ; attention_bwd.py:47:25 @[ attention_bwd.py:200:26 ]
	v_addc_co_u32_e64 v97, s[16:17], v97, v0, s[30:31]
	v_addc_co_u32_e64 v99, s[16:17], v99, v0, s[34:35]
	;; [unrolled: 1-line block ×3, first 2 shown]
	.loc	1 69 26                         ; attention_bwd.py:69:26 @[ attention_bwd.py:200:26 ]
	v_mfma_f32_32x32x8f16 v[18:33], v[66:67], v[68:69], v[18:33]
	v_perm_b32 v66, v199, v198, s70
	v_perm_b32 v67, v201, v200, s70
	.loc	1 47 25                         ; attention_bwd.py:47:25 @[ attention_bwd.py:200:26 ]
	v_addc_co_u32_e64 v103, s[16:17], v103, v0, s[38:39]
	v_addc_co_u32_e64 v105, s[14:15], v105, v0, s[14:15]
	v_addc_co_u32_e32 v107, vcc, v107, v0, vcc
	v_addc_co_u32_e64 v109, vcc, v109, v0, s[2:3]
	v_addc_co_u32_e64 v111, vcc, v111, v0, s[4:5]
	;; [unrolled: 1-line block ×3, first 2 shown]
	.loc	1 69 26                         ; attention_bwd.py:69:26 @[ attention_bwd.py:200:26 ]
	v_perm_b32 v70, v195, v194, s69
	v_mfma_f32_32x32x8f16 v[2:17], v[66:67], v[68:69], v[2:17]
	.loc	1 67 26                         ; attention_bwd.py:67:26 @[ attention_bwd.py:200:26 ]
	v_pk_add_f32 v[68:69], v[78:79], v[214:215] neg_lo:[0,1] neg_hi:[0,1]
	.loc	1 67 20 is_stmt 0               ; attention_bwd.py:67:20 @[ attention_bwd.py:200:26 ]
	v_pk_mul_f32 v[68:69], v[130:131], v[68:69]
	.loc	1 69 26 is_stmt 1               ; attention_bwd.py:69:26 @[ attention_bwd.py:200:26 ]
	v_perm_b32 v71, v197, v196, s69
	v_perm_b32 v66, v195, v194, s70
	;; [unrolled: 1-line block ×3, first 2 shown]
	.loc	1 68 21                         ; attention_bwd.py:68:21 @[ attention_bwd.py:200:26 ]
	v_cvt_f16_f32_e32 v0, v69
	v_cvt_f16_f32_e32 v1, v73
	;; [unrolled: 1-line block ×4, first 2 shown]
	v_accvgpr_read_b32 v142, a9
	v_accvgpr_read_b32 v138, a8
	.loc	1 69 26                         ; attention_bwd.py:69:26 @[ attention_bwd.py:200:26 ]
	v_pack_b32_f16 v69, v69, v1
	v_pack_b32_f16 v68, v68, v0
	v_accvgpr_read_b32 v139, a7
	v_accvgpr_read_b32 v143, a6
	v_mfma_f32_32x32x8f16 v[18:33], v[70:71], v[68:69], v[18:33]
	v_accvgpr_read_b32 v140, a5
	v_accvgpr_read_b32 v136, a4
	;; [unrolled: 1-line block ×9, first 2 shown]
	s_waitcnt vmcnt(4)
	v_mov_b32_e32 v228, v115
	v_mov_b32_e32 v229, v116
	;; [unrolled: 1-line block ×3, first 2 shown]
	s_waitcnt vmcnt(3)
	v_mov_b32_e32 v224, v158
	v_mov_b32_e32 v225, v159
	;; [unrolled: 1-line block ×3, first 2 shown]
	v_mfma_f32_32x32x8f16 v[2:17], v[66:67], v[68:69], v[2:17]
	v_mov_b32_e32 v221, v157
	s_waitcnt vmcnt(2)
	v_mov_b32_e32 v222, v166
	v_mov_b32_e32 v223, v167
	;; [unrolled: 1-line block ×4, first 2 shown]
	s_waitcnt vmcnt(1)
	v_mov_b32_e32 v216, v170
	v_mov_b32_e32 v217, v171
	;; [unrolled: 1-line block ×4, first 2 shown]
	.loc	1 47 25                         ; attention_bwd.py:47:25 @[ attention_bwd.py:200:26 ]
	s_cbranch_scc1 .LBB0_70
; %bb.71:                               ; %Flow1282
	.loc	1 0 25 is_stmt 0                ; attention_bwd.py:0:25
	v_mov_b32_e32 v0, s55
	v_add_co_u32_e32 v80, vcc, s54, v242
	v_addc_co_u32_e32 v81, vcc, v243, v0, vcc
	v_add_co_u32_e32 v78, vcc, s54, v240
	v_addc_co_u32_e32 v79, vcc, v241, v0, vcc
	;; [unrolled: 2-line block ×16, first 2 shown]
	v_accvgpr_read_b32 v177, a55
	v_accvgpr_read_b32 v179, a57
	;; [unrolled: 1-line block ×45, first 2 shown]
	.loc	1 48 21 is_stmt 1               ; attention_bwd.py:48:21 @[ attention_bwd.py:200:26 ]
	s_and_b64 vcc, exec, s[0:1]
	s_cbranch_vccz .LBB0_81
.LBB0_72:
	.loc	1 0 21 is_stmt 0                ; attention_bwd.py:0:21
	v_mov_b32_e32 v118, 0
	.loc	1 48 21                         ; attention_bwd.py:48:21 @[ attention_bwd.py:200:26 ]
	s_and_b64 vcc, exec, s[0:1]
	s_cbranch_vccz .LBB0_82
.LBB0_73:
	.loc	1 0 21                          ; attention_bwd.py:0:21
	v_mov_b32_e32 v119, 0
	.loc	1 48 21                         ; attention_bwd.py:48:21 @[ attention_bwd.py:200:26 ]
	s_and_b64 vcc, exec, s[0:1]
	s_cbranch_vccz .LBB0_83
.LBB0_74:
	.loc	1 0 21                          ; attention_bwd.py:0:21
	v_mov_b32_e32 v128, 0
	.loc	1 48 21                         ; attention_bwd.py:48:21 @[ attention_bwd.py:200:26 ]
	s_and_b64 vcc, exec, s[0:1]
	s_cbranch_vccz .LBB0_84
.LBB0_75:
	.loc	1 0 21                          ; attention_bwd.py:0:21
	v_mov_b32_e32 v129, 0
	.loc	1 48 21                         ; attention_bwd.py:48:21 @[ attention_bwd.py:200:26 ]
	s_and_b64 vcc, exec, s[0:1]
	s_cbranch_vccz .LBB0_85
.LBB0_76:
	.loc	1 0 21                          ; attention_bwd.py:0:21
	v_mov_b32_e32 v137, 0
	.loc	1 48 21                         ; attention_bwd.py:48:21 @[ attention_bwd.py:200:26 ]
	s_and_b64 vcc, exec, s[0:1]
	s_cbranch_vccz .LBB0_86
.LBB0_77:
	.loc	1 0 21                          ; attention_bwd.py:0:21
	v_mov_b32_e32 v144, 0
	.loc	1 48 21                         ; attention_bwd.py:48:21 @[ attention_bwd.py:200:26 ]
	s_and_b64 vcc, exec, s[0:1]
	s_cbranch_vccz .LBB0_87
.LBB0_78:
	.loc	1 0 21                          ; attention_bwd.py:0:21
	v_mov_b32_e32 v145, 0
	.loc	1 48 21                         ; attention_bwd.py:48:21 @[ attention_bwd.py:200:26 ]
	s_and_b64 vcc, exec, s[0:1]
	s_cbranch_vccz .LBB0_88
.LBB0_79:
	.loc	1 0 21                          ; attention_bwd.py:0:21
	v_mov_b32_e32 v164, 0
	.loc	1 48 21                         ; attention_bwd.py:48:21 @[ attention_bwd.py:200:26 ]
	s_branch .LBB0_89
.LBB0_80:
	.loc	1 0 21                          ; attention_bwd.py:0:21
	v_accvgpr_read_b32 v67, a0
	v_or_b32_e32 v83, s4, v67
	v_accvgpr_read_b32 v67, a1
	v_or_b32_e32 v85, s4, v67
	;; [unrolled: 2-line block ×5, first 2 shown]
	v_or_b32_e32 v91, s4, v67
	v_accvgpr_read_b32 v67, a5
	v_or_b32_e32 v93, s4, v67
	v_accvgpr_read_b32 v67, a6
	v_mul_lo_u32 v66, s52, v66
	v_or_b32_e32 v95, s4, v67
	v_ashrrev_i32_e32 v67, 31, v66
	v_lshlrev_b64 v[66:67], 1, v[66:67]
	v_mov_b32_e32 v68, s64
	v_add_co_u32_e32 v66, vcc, s63, v66
	v_addc_co_u32_e32 v67, vcc, v68, v67, vcc
	v_add_co_u32_e32 v80, vcc, v66, v250
	v_addc_co_u32_e32 v81, vcc, v67, v251, vcc
	;; [unrolled: 2-line block ×5, first 2 shown]
	v_add_co_u32_e32 v72, vcc, v66, v96
	v_accvgpr_write_b32 a165, v71
	v_addc_co_u32_e32 v73, vcc, v67, v97, vcc
	v_accvgpr_write_b32 a164, v70
	v_add_co_u32_e32 v70, vcc, v66, v104
	v_addc_co_u32_e32 v71, vcc, v67, v105, vcc
	v_or_b32_e32 v82, s4, v129
	v_add_co_u32_e32 v68, vcc, v66, v102
	v_addc_co_u32_e32 v69, vcc, v67, v103, vcc
	v_mul_lo_u32 v82, s52, v82
	v_add_co_u32_e32 v66, vcc, v66, v100
	v_mul_lo_u32 v84, s52, v83
	v_ashrrev_i32_e32 v83, 31, v82
	v_addc_co_u32_e32 v67, vcc, v67, v101, vcc
	v_lshlrev_b64 v[82:83], 1, v[82:83]
	v_mul_lo_u32 v86, s52, v85
	v_mov_b32_e32 v85, s62
	v_add_co_u32_e32 v98, vcc, s61, v82
	v_addc_co_u32_e32 v99, vcc, v85, v83, vcc
	v_ashrrev_i32_e32 v85, 31, v84
	v_lshlrev_b64 v[82:83], 1, v[84:85]
	v_mul_lo_u32 v88, s52, v87
	v_mov_b32_e32 v84, s62
	v_add_co_u32_e32 v85, vcc, s61, v82
	v_ashrrev_i32_e32 v87, 31, v86
	v_addc_co_u32_e32 v84, vcc, v84, v83, vcc
	v_lshlrev_b64 v[82:83], 1, v[86:87]
	v_mul_lo_u32 v90, s52, v89
	v_mov_b32_e32 v86, s62
	v_add_co_u32_e32 v87, vcc, s61, v82
	v_ashrrev_i32_e32 v89, 31, v88
	v_addc_co_u32_e32 v86, vcc, v86, v83, vcc
	v_lshlrev_b64 v[82:83], 1, v[88:89]
	v_mul_lo_u32 v92, s52, v91
	v_mov_b32_e32 v88, s62
	v_add_co_u32_e32 v89, vcc, s61, v82
	v_ashrrev_i32_e32 v91, 31, v90
	v_accvgpr_write_b32 a173, v101
	v_addc_co_u32_e32 v88, vcc, v88, v83, vcc
	v_lshlrev_b64 v[82:83], 1, v[90:91]
	v_accvgpr_write_b32 a172, v100
	v_mul_lo_u32 v94, s52, v93
	v_mov_b32_e32 v90, s62
	v_add_co_u32_e32 v100, vcc, s61, v82
	v_ashrrev_i32_e32 v93, 31, v92
	v_accvgpr_write_b32 a167, v97
	v_accvgpr_write_b32 a171, v103
	v_addc_co_u32_e32 v101, vcc, v90, v83, vcc
	v_lshlrev_b64 v[82:83], 1, v[92:93]
	v_accvgpr_write_b32 a166, v96
	v_accvgpr_write_b32 a170, v102
	v_mul_lo_u32 v96, s52, v95
	v_add_co_u32_e32 v102, vcc, s61, v82
	v_ashrrev_i32_e32 v95, 31, v94
	v_accvgpr_write_b32 a169, v105
	v_addc_co_u32_e32 v103, vcc, v90, v83, vcc
	v_lshlrev_b64 v[82:83], 1, v[94:95]
	v_accvgpr_write_b32 a168, v104
	v_add_co_u32_e32 v104, vcc, s61, v82
	v_ashrrev_i32_e32 v97, 31, v96
	v_addc_co_u32_e32 v105, vcc, v90, v83, vcc
	v_lshlrev_b64 v[82:83], 1, v[96:97]
	v_add_co_u32_e32 v82, vcc, s61, v82
	v_addc_co_u32_e32 v83, vcc, v90, v83, vcc
	v_add_co_u32_e32 v96, vcc, v98, v126
	v_addc_co_u32_e32 v97, vcc, v99, v127, vcc
	v_add_co_u32_e32 v94, vcc, v85, v126
	v_addc_co_u32_e32 v95, vcc, v84, v127, vcc
	v_add_co_u32_e32 v92, vcc, v87, v126
	v_addc_co_u32_e32 v93, vcc, v86, v127, vcc
	v_add_co_u32_e32 v90, vcc, v89, v126
	v_addc_co_u32_e32 v91, vcc, v88, v127, vcc
	v_add_co_u32_e32 v88, vcc, v100, v126
	v_addc_co_u32_e32 v89, vcc, v101, v127, vcc
	v_add_co_u32_e32 v86, vcc, v102, v126
	v_addc_co_u32_e32 v87, vcc, v103, v127, vcc
	v_add_co_u32_e32 v84, vcc, v104, v126
	v_addc_co_u32_e32 v85, vcc, v105, v127, vcc
	v_add_co_u32_e32 v82, vcc, v82, v126
	v_addc_co_u32_e32 v83, vcc, v83, v127, vcc
	v_accvgpr_read_b32 v153, a93
	.loc	1 48 21 is_stmt 1               ; attention_bwd.py:48:21 @[ attention_bwd.py:200:26 ]
	s_and_b64 vcc, exec, s[0:1]
	s_cbranch_vccnz .LBB0_72
.LBB0_81:
	global_load_ushort v118, v[80:81], off
	s_and_b64 vcc, exec, s[0:1]
	s_cbranch_vccnz .LBB0_73
.LBB0_82:
	global_load_ushort v119, v[78:79], off
	s_and_b64 vcc, exec, s[0:1]
	s_cbranch_vccnz .LBB0_74
.LBB0_83:
	global_load_ushort v128, v[76:77], off
	s_and_b64 vcc, exec, s[0:1]
	s_cbranch_vccnz .LBB0_75
.LBB0_84:
	global_load_ushort v129, v[74:75], off
	s_and_b64 vcc, exec, s[0:1]
	s_cbranch_vccnz .LBB0_76
.LBB0_85:
	global_load_ushort v137, v[72:73], off
	s_and_b64 vcc, exec, s[0:1]
	s_cbranch_vccnz .LBB0_77
.LBB0_86:
	global_load_ushort v144, v[70:71], off
	s_and_b64 vcc, exec, s[0:1]
	s_cbranch_vccnz .LBB0_78
.LBB0_87:
	global_load_ushort v145, v[68:69], off
	s_and_b64 vcc, exec, s[0:1]
	s_cbranch_vccnz .LBB0_79
.LBB0_88:
	global_load_ushort v164, v[66:67], off
.LBB0_89:
	.loc	1 0 21 is_stmt 0                ; attention_bwd.py:0:21
	v_accvgpr_read_b32 v0, a177
	.loc	1 52 24 is_stmt 1               ; attention_bwd.py:52:24 @[ attention_bwd.py:200:26 ]
	s_and_b64 vcc, exec, s[0:1]
	.loc	1 48 21                         ; attention_bwd.py:48:21 @[ attention_bwd.py:200:26 ]
	v_add3_u32 v202, 0, v114, v0
	s_waitcnt lgkmcnt(0)
	s_barrier
	s_waitcnt vmcnt(0)
	ds_write_b16 v162, v118
	ds_write_b16 v162, v119 offset:512
	ds_write_b16 v162, v128 offset:1024
	;; [unrolled: 1-line block ×7, first 2 shown]
	s_waitcnt lgkmcnt(0)
	s_barrier
	.loc	1 52 24                         ; attention_bwd.py:52:24 @[ attention_bwd.py:200:26 ]
	s_cbranch_vccnz .LBB0_99
; %bb.90:
	.loc	1 48 21                         ; attention_bwd.py:48:21 @[ attention_bwd.py:200:26 ]
	ds_read_u16 v0, v202 offset:192
	ds_read_u16 v1, v202 offset:128
	;; [unrolled: 1-line block ×3, first 2 shown]
	ds_read_u16 v67, v202
	.loc	1 52 24                         ; attention_bwd.py:52:24 @[ attention_bwd.py:200:26 ]
	s_mov_b32 s2, 0x5040100
	s_waitcnt lgkmcnt(2)
	v_perm_b32 v99, v0, v1, s2
	s_waitcnt lgkmcnt(0)
	v_perm_b32 v98, v66, v67, s2
	s_nop 1
	v_mfma_f32_32x32x8f16 v[66:81], v[98:99], a[46:47], 0
	.loc	1 48 21                         ; attention_bwd.py:48:21 @[ attention_bwd.py:200:26 ]
	ds_read_u16 v0, v202 offset:704
	ds_read_u16 v1, v202 offset:640
	ds_read_u16 v98, v202 offset:576
	ds_read_u16 v100, v202 offset:512
	.loc	1 52 24                         ; attention_bwd.py:52:24 @[ attention_bwd.py:200:26 ]
	s_waitcnt lgkmcnt(2)
	v_perm_b32 v99, v0, v1, s2
	s_waitcnt lgkmcnt(0)
	v_perm_b32 v98, v98, v100, s2
	s_nop 1
	v_mfma_f32_32x32x8f16 v[66:81], v[98:99], a[44:45], v[66:81]
	.loc	1 48 21                         ; attention_bwd.py:48:21 @[ attention_bwd.py:200:26 ]
	ds_read_u16 v0, v202 offset:1216
	ds_read_u16 v1, v202 offset:1152
	ds_read_u16 v98, v202 offset:1088
	ds_read_u16 v100, v202 offset:1024
	.loc	1 52 24                         ; attention_bwd.py:52:24 @[ attention_bwd.py:200:26 ]
	;; [unrolled: 12-line block ×7, first 2 shown]
	s_waitcnt lgkmcnt(2)
	v_perm_b32 v99, v0, v1, s2
	s_waitcnt lgkmcnt(0)
	v_perm_b32 v98, v98, v100, s2
	s_nop 1
	v_mfma_f32_32x32x8f16 v[66:81], v[98:99], a[32:33], v[66:81]
	.loc	1 58 21                         ; attention_bwd.py:58:21 @[ attention_bwd.py:200:26 ]
	s_and_b64 vcc, exec, s[0:1]
	s_cbranch_vccz .LBB0_100
.LBB0_91:
	.loc	1 0 21 is_stmt 0                ; attention_bwd.py:0:21
	v_mov_b32_e32 v98, 0
	.loc	1 58 21                         ; attention_bwd.py:58:21 @[ attention_bwd.py:200:26 ]
	s_and_b64 vcc, exec, s[0:1]
	s_cbranch_vccz .LBB0_101
.LBB0_92:
	.loc	1 0 21                          ; attention_bwd.py:0:21
	v_mov_b32_e32 v99, 0
	.loc	1 58 21                         ; attention_bwd.py:58:21 @[ attention_bwd.py:200:26 ]
	s_and_b64 vcc, exec, s[0:1]
	s_cbranch_vccz .LBB0_102
.LBB0_93:
	.loc	1 0 21                          ; attention_bwd.py:0:21
	v_mov_b32_e32 v100, 0
	.loc	1 58 21                         ; attention_bwd.py:58:21 @[ attention_bwd.py:200:26 ]
	s_and_b64 vcc, exec, s[0:1]
	s_cbranch_vccz .LBB0_103
.LBB0_94:
	.loc	1 0 21                          ; attention_bwd.py:0:21
	v_mov_b32_e32 v101, 0
	.loc	1 58 21                         ; attention_bwd.py:58:21 @[ attention_bwd.py:200:26 ]
	s_and_b64 vcc, exec, s[0:1]
	s_cbranch_vccz .LBB0_104
.LBB0_95:
	.loc	1 0 21                          ; attention_bwd.py:0:21
	v_mov_b32_e32 v102, 0
	.loc	1 58 21                         ; attention_bwd.py:58:21 @[ attention_bwd.py:200:26 ]
	s_and_b64 vcc, exec, s[0:1]
	s_cbranch_vccz .LBB0_105
.LBB0_96:
	.loc	1 0 21                          ; attention_bwd.py:0:21
	v_mov_b32_e32 v103, 0
	.loc	1 58 21                         ; attention_bwd.py:58:21 @[ attention_bwd.py:200:26 ]
	s_and_b64 vcc, exec, s[0:1]
	s_cbranch_vccz .LBB0_106
.LBB0_97:
	.loc	1 0 21                          ; attention_bwd.py:0:21
	v_mov_b32_e32 v104, 0
	.loc	1 58 21                         ; attention_bwd.py:58:21 @[ attention_bwd.py:200:26 ]
	s_and_b64 vcc, exec, s[0:1]
	s_cbranch_vccz .LBB0_107
.LBB0_98:
	.loc	1 0 21                          ; attention_bwd.py:0:21
	v_mov_b32_e32 v105, 0
	.loc	1 58 21                         ; attention_bwd.py:58:21 @[ attention_bwd.py:200:26 ]
	s_branch .LBB0_108
.Ltmp48:
.LBB0_99:
	.loc	1 200 26 is_stmt 1              ; attention_bwd.py:200:26
	v_mov_b32_e32 v66, 0
	v_mov_b32_e32 v67, 0
	;; [unrolled: 1-line block ×16, first 2 shown]
.Ltmp49:
	.loc	1 58 21                         ; attention_bwd.py:58:21 @[ attention_bwd.py:200:26 ]
	s_and_b64 vcc, exec, s[0:1]
	s_cbranch_vccnz .LBB0_91
.LBB0_100:
	global_load_ushort v98, v[96:97], off
	s_and_b64 vcc, exec, s[0:1]
	s_cbranch_vccnz .LBB0_92
.LBB0_101:
	global_load_ushort v99, v[94:95], off
	s_and_b64 vcc, exec, s[0:1]
	s_cbranch_vccnz .LBB0_93
.LBB0_102:
	global_load_ushort v100, v[92:93], off
	s_and_b64 vcc, exec, s[0:1]
	s_cbranch_vccnz .LBB0_94
.LBB0_103:
	global_load_ushort v101, v[90:91], off
	s_and_b64 vcc, exec, s[0:1]
	s_cbranch_vccnz .LBB0_95
.LBB0_104:
	global_load_ushort v102, v[88:89], off
	s_and_b64 vcc, exec, s[0:1]
	s_cbranch_vccnz .LBB0_96
.LBB0_105:
	global_load_ushort v103, v[86:87], off
	s_and_b64 vcc, exec, s[0:1]
	s_cbranch_vccnz .LBB0_97
.LBB0_106:
	global_load_ushort v104, v[84:85], off
	s_and_b64 vcc, exec, s[0:1]
	s_cbranch_vccnz .LBB0_98
.LBB0_107:
	global_load_ushort v105, v[82:83], off
.LBB0_108:
	.loc	1 53 32                         ; attention_bwd.py:53:32 @[ attention_bwd.py:200:26 ]
	v_sub_f32_e32 v0, v66, v151
	v_sub_f32_e32 v1, v67, v141
	;; [unrolled: 1-line block ×16, first 2 shown]
	.loc	1 53 26 is_stmt 0               ; attention_bwd.py:53:26 @[ attention_bwd.py:200:26 ]
	v_exp_f32_e32 v198, v0
	v_exp_f32_e32 v199, v1
	v_exp_f32_e32 v200, v66
	v_exp_f32_e32 v201, v67
	v_exp_f32_e32 v194, v68
	v_exp_f32_e32 v195, v69
	v_exp_f32_e32 v196, v70
	v_exp_f32_e32 v197, v71
	v_exp_f32_e32 v190, v72
	v_exp_f32_e32 v191, v73
	v_exp_f32_e32 v192, v74
	v_exp_f32_e32 v193, v75
	v_exp_f32_e32 v120, v76
	v_exp_f32_e32 v121, v77
	v_exp_f32_e32 v188, v78
	v_exp_f32_e32 v189, v79
	.loc	1 62 26 is_stmt 1               ; attention_bwd.py:62:26 @[ attention_bwd.py:200:26 ]
	s_and_b64 vcc, exec, s[0:1]
	v_mov_b32_e32 v66, v34
	v_mov_b32_e32 v67, v35
	;; [unrolled: 1-line block ×32, first 2 shown]
	.loc	1 58 21                         ; attention_bwd.py:58:21 @[ attention_bwd.py:200:26 ]
	s_waitcnt lgkmcnt(0)
	s_barrier
	s_waitcnt vmcnt(0)
	ds_write_b16 v162, v98
	ds_write_b16 v162, v99 offset:512
	ds_write_b16 v162, v100 offset:1024
	;; [unrolled: 1-line block ×7, first 2 shown]
	s_waitcnt lgkmcnt(0)
	s_barrier
	.loc	1 62 26                         ; attention_bwd.py:62:26 @[ attention_bwd.py:200:26 ]
	s_cbranch_vccnz .LBB0_110
; %bb.109:
	.loc	1 58 21                         ; attention_bwd.py:58:21 @[ attention_bwd.py:200:26 ]
	ds_read_u16 v0, v150 offset:384
	ds_read_u16 v1, v150 offset:256
	ds_read_u16 v66, v150 offset:128
	ds_read_u16 v67, v150
	.loc	1 61 21                         ; attention_bwd.py:61:21 @[ attention_bwd.py:200:26 ]
	v_cvt_f16_f32_e32 v68, v201
	v_cvt_f16_f32_e32 v69, v200
	;; [unrolled: 1-line block ×4, first 2 shown]
	.loc	1 62 26                         ; attention_bwd.py:62:26 @[ attention_bwd.py:200:26 ]
	s_mov_b32 s2, 0x5040100
	s_waitcnt lgkmcnt(2)
	v_perm_b32 v83, v0, v1, s2
	s_waitcnt lgkmcnt(0)
	v_perm_b32 v82, v66, v67, s2
	v_pack_b32_f16 v107, v69, v68
	v_pack_b32_f16 v106, v71, v70
	v_pk_mov_b32 v[80:81], v[48:49], v[48:49] op_sel:[0,1]
	v_pk_mov_b32 v[78:79], v[46:47], v[46:47] op_sel:[0,1]
	;; [unrolled: 1-line block ×8, first 2 shown]
	.loc	1 61 21                         ; attention_bwd.py:61:21 @[ attention_bwd.py:200:26 ]
	v_cvt_f16_f32_e32 v85, v197
	v_cvt_f16_f32_e32 v86, v196
	.loc	1 62 26                         ; attention_bwd.py:62:26 @[ attention_bwd.py:200:26 ]
	v_mfma_f32_32x32x8f16 v[66:81], v[82:83], v[106:107], v[66:81]
	.loc	1 58 21                         ; attention_bwd.py:58:21 @[ attention_bwd.py:200:26 ]
	ds_read_u16 v0, v150 offset:1408
	ds_read_u16 v1, v150 offset:1280
	;; [unrolled: 1-line block ×4, first 2 shown]
	.loc	1 61 21                         ; attention_bwd.py:61:21 @[ attention_bwd.py:200:26 ]
	v_cvt_f16_f32_e32 v87, v195
	v_cvt_f16_f32_e32 v88, v194
	.loc	1 62 26                         ; attention_bwd.py:62:26 @[ attention_bwd.py:200:26 ]
	s_waitcnt lgkmcnt(2)
	v_perm_b32 v83, v0, v1, s2
	v_pack_b32_f16 v109, v86, v85
	s_waitcnt lgkmcnt(0)
	v_perm_b32 v82, v82, v84, s2
	v_pack_b32_f16 v108, v88, v87
	.loc	1 61 21                         ; attention_bwd.py:61:21 @[ attention_bwd.py:200:26 ]
	v_cvt_f16_f32_e32 v85, v193
	v_cvt_f16_f32_e32 v86, v192
	;; [unrolled: 1-line block ×4, first 2 shown]
	.loc	1 62 26                         ; attention_bwd.py:62:26 @[ attention_bwd.py:200:26 ]
	v_pack_b32_f16 v111, v86, v85
	.loc	1 61 21                         ; attention_bwd.py:61:21 @[ attention_bwd.py:200:26 ]
	v_cvt_f16_f32_e32 v85, v189
	.loc	1 62 26                         ; attention_bwd.py:62:26 @[ attention_bwd.py:200:26 ]
	v_pack_b32_f16 v110, v88, v87
	v_mfma_f32_32x32x8f16 v[66:81], v[82:83], v[108:109], v[66:81]
	.loc	1 58 21                         ; attention_bwd.py:58:21 @[ attention_bwd.py:200:26 ]
	ds_read_u16 v0, v150 offset:2432
	ds_read_u16 v1, v150 offset:2304
	;; [unrolled: 1-line block ×4, first 2 shown]
	.loc	1 61 21                         ; attention_bwd.py:61:21 @[ attention_bwd.py:200:26 ]
	v_cvt_f16_f32_e32 v86, v188
	v_cvt_f16_f32_e32 v87, v121
	.loc	1 62 26                         ; attention_bwd.py:62:26 @[ attention_bwd.py:200:26 ]
	s_waitcnt lgkmcnt(2)
	v_perm_b32 v83, v0, v1, s2
	.loc	1 61 21                         ; attention_bwd.py:61:21 @[ attention_bwd.py:200:26 ]
	v_cvt_f16_f32_e32 v88, v120
	.loc	1 62 26                         ; attention_bwd.py:62:26 @[ attention_bwd.py:200:26 ]
	s_waitcnt lgkmcnt(0)
	v_perm_b32 v82, v82, v84, s2
	v_pack_b32_f16 v113, v86, v85
	v_pack_b32_f16 v112, v88, v87
	v_mfma_f32_32x32x8f16 v[66:81], v[82:83], v[110:111], v[66:81]
	.loc	1 58 21                         ; attention_bwd.py:58:21 @[ attention_bwd.py:200:26 ]
	ds_read_u16 v0, v150 offset:3456
	ds_read_u16 v1, v150 offset:3328
	;; [unrolled: 1-line block ×4, first 2 shown]
	.loc	1 62 26                         ; attention_bwd.py:62:26 @[ attention_bwd.py:200:26 ]
	s_waitcnt lgkmcnt(2)
	v_perm_b32 v83, v0, v1, s2
	s_waitcnt lgkmcnt(0)
	v_perm_b32 v82, v82, v84, s2
	s_nop 1
	v_mfma_f32_32x32x8f16 v[66:81], v[82:83], v[112:113], v[66:81]
	.loc	1 58 21                         ; attention_bwd.py:58:21 @[ attention_bwd.py:200:26 ]
	ds_read_u16 v0, v150 offset:320
	ds_read_u16 v1, v150 offset:192
	;; [unrolled: 1-line block ×4, first 2 shown]
	.loc	1 62 26                         ; attention_bwd.py:62:26 @[ attention_bwd.py:200:26 ]
	s_waitcnt lgkmcnt(1)
	v_perm_b32 v131, v82, v0, s2
	s_waitcnt lgkmcnt(0)
	v_perm_b32 v130, v1, v83, s2
	v_pk_mov_b32 v[96:97], v[64:65], v[64:65] op_sel:[0,1]
	v_pk_mov_b32 v[94:95], v[62:63], v[62:63] op_sel:[0,1]
	;; [unrolled: 1-line block ×8, first 2 shown]
	s_nop 1
	v_mfma_f32_32x32x8f16 v[82:97], v[130:131], v[106:107], v[82:97]
	.loc	1 58 21                         ; attention_bwd.py:58:21 @[ attention_bwd.py:200:26 ]
	ds_read_u16 v0, v150 offset:1344
	ds_read_u16 v1, v150 offset:1216
	ds_read_u16 v106, v150 offset:1472
	ds_read_u16 v114, v150 offset:1088
	.loc	1 62 26                         ; attention_bwd.py:62:26 @[ attention_bwd.py:200:26 ]
	s_waitcnt lgkmcnt(1)
	v_perm_b32 v107, v106, v0, s2
	s_waitcnt lgkmcnt(0)
	v_perm_b32 v106, v1, v114, s2
	s_nop 1
	v_mfma_f32_32x32x8f16 v[82:97], v[106:107], v[108:109], v[82:97]
	.loc	1 58 21                         ; attention_bwd.py:58:21 @[ attention_bwd.py:200:26 ]
	ds_read_u16 v0, v150 offset:2368
	ds_read_u16 v1, v150 offset:2240
	ds_read_u16 v106, v150 offset:2496
	ds_read_u16 v108, v150 offset:2112
	.loc	1 62 26                         ; attention_bwd.py:62:26 @[ attention_bwd.py:200:26 ]
	s_waitcnt lgkmcnt(1)
	v_perm_b32 v107, v106, v0, s2
	s_waitcnt lgkmcnt(0)
	v_perm_b32 v106, v1, v108, s2
	;; [unrolled: 12-line block ×3, first 2 shown]
	s_nop 1
	v_mfma_f32_32x32x8f16 v[82:97], v[106:107], v[112:113], v[82:97]
.LBB0_110:
	.loc	1 0 26 is_stmt 0                ; attention_bwd.py:0:26
	v_accvgpr_read_b32 v149, a61
	v_accvgpr_read_b32 v150, a63
	;; [unrolled: 1-line block ×3, first 2 shown]
	.loc	1 66 24 is_stmt 1               ; attention_bwd.py:66:24 @[ attention_bwd.py:200:26 ]
	s_and_b64 vcc, exec, s[0:1]
	.loc	1 66 33 is_stmt 0               ; attention_bwd.py:66:33 @[ attention_bwd.py:200:26 ]
	s_waitcnt lgkmcnt(0)
	s_barrier
	ds_write_b16 v149, v98
	ds_write_b16 v149, v102 offset:2048
	ds_write_b16 v150, v99 offset:512
	ds_write_b16 v150, v103 offset:2560
	ds_write_b16 v151, v100 offset:1024
	ds_write_b16 v151, v104 offset:3072
	ds_write_b16 v153, v101 offset:1536
	ds_write_b16 v153, v105 offset:3584
	s_waitcnt lgkmcnt(0)
	s_barrier
	.loc	1 66 24                         ; attention_bwd.py:66:24 @[ attention_bwd.py:200:26 ]
	s_cbranch_vccnz .LBB0_112
; %bb.111:
	.loc	1 0 24                          ; attention_bwd.py:0:24
	v_accvgpr_read_b32 v0, a155
	v_accvgpr_read_b32 v1, a156
	.loc	1 66 33                         ; attention_bwd.py:66:33 @[ attention_bwd.py:200:26 ]
	v_or_b32_e32 v0, v0, v1
	v_add_u32_e32 v1, 0, v0
	ds_read_b64 v[114:115], v1
	v_xad_u32 v1, v0, 16, 0
	.loc	1 66 24                         ; attention_bwd.py:66:24 @[ attention_bwd.py:200:26 ]
	s_waitcnt lgkmcnt(0)
	v_mfma_f32_32x32x8f16 v[98:113], v[114:115], a[30:31], 0
	.loc	1 66 33                         ; attention_bwd.py:66:33 @[ attention_bwd.py:200:26 ]
	ds_read_b64 v[114:115], v1
	v_xad_u32 v1, v0, 32, 0
	.loc	1 66 24                         ; attention_bwd.py:66:24 @[ attention_bwd.py:200:26 ]
	s_waitcnt lgkmcnt(0)
	v_mfma_f32_32x32x8f16 v[98:113], v[114:115], a[28:29], v[98:113]
	.loc	1 66 33                         ; attention_bwd.py:66:33 @[ attention_bwd.py:200:26 ]
	;; [unrolled: 6-line block ×4, first 2 shown]
	ds_read_b64 v[114:115], v1
	v_xor_b32_e32 v1, 0x50, v0
	v_add_u32_e32 v1, 0, v1
	.loc	1 66 24                         ; attention_bwd.py:66:24 @[ attention_bwd.py:200:26 ]
	s_waitcnt lgkmcnt(0)
	v_mfma_f32_32x32x8f16 v[98:113], v[114:115], a[22:23], v[98:113]
	.loc	1 66 33                         ; attention_bwd.py:66:33 @[ attention_bwd.py:200:26 ]
	ds_read_b64 v[114:115], v1
	v_xor_b32_e32 v1, 0x60, v0
	v_add_u32_e32 v1, 0, v1
	v_xor_b32_e32 v0, 0x70, v0
	v_add_u32_e32 v0, 0, v0
	.loc	1 66 24                         ; attention_bwd.py:66:24 @[ attention_bwd.py:200:26 ]
	s_waitcnt lgkmcnt(0)
	v_mfma_f32_32x32x8f16 v[98:113], v[114:115], a[20:21], v[98:113]
	.loc	1 66 33                         ; attention_bwd.py:66:33 @[ attention_bwd.py:200:26 ]
	ds_read_b64 v[114:115], v1
	ds_read_b64 v[0:1], v0
	.loc	1 66 24                         ; attention_bwd.py:66:24 @[ attention_bwd.py:200:26 ]
	s_waitcnt lgkmcnt(1)
	v_mfma_f32_32x32x8f16 v[98:113], v[114:115], a[18:19], v[98:113]
	s_waitcnt lgkmcnt(0)
	v_mfma_f32_32x32x8f16 v[98:113], v[0:1], a[16:17], v[98:113]
	s_branch .LBB0_113
.LBB0_112:
	.loc	1 0 24                          ; attention_bwd.py:0:24
	v_mov_b32_e32 v100, 0
	v_mov_b32_e32 v101, 0
	;; [unrolled: 1-line block ×16, first 2 shown]
.LBB0_113:
	.loc	1 69 35 is_stmt 1               ; attention_bwd.py:69:35 @[ attention_bwd.py:200:26 ]
	s_mov_b32 s18, 0
	.loc	1 69 26 is_stmt 0               ; attention_bwd.py:69:26 @[ attention_bwd.py:200:26 ]
	s_and_b64 vcc, exec, s[0:1]
	.loc	1 69 35                         ; attention_bwd.py:69:35 @[ attention_bwd.py:200:26 ]
	s_waitcnt lgkmcnt(0)
	s_barrier
	ds_write_b16 v149, v118
	ds_write_b16 v149, v128 offset:1024
	ds_write_b16 v149, v137 offset:2048
	;; [unrolled: 1-line block ×7, first 2 shown]
	s_waitcnt lgkmcnt(0)
	s_barrier
	.loc	1 69 26                         ; attention_bwd.py:69:26 @[ attention_bwd.py:200:26 ]
	s_cbranch_vccnz .LBB0_115
; %bb.114:
	.loc	1 69 35                         ; attention_bwd.py:69:35 @[ attention_bwd.py:200:26 ]
	v_lshlrev_b32_e32 v0, 2, v125
	v_and_b32_e32 v0, 56, v0
	v_lshl_or_b32 v0, v173, 6, v0
	v_xor_b32_e32 v0, v0, v185
	v_add_u32_e32 v1, 0, v0
	ds_read2st64_b64 v[34:37], v1 offset1:4
	.loc	1 67 26 is_stmt 1               ; attention_bwd.py:67:26 @[ attention_bwd.py:200:26 ]
	v_pk_add_f32 v[38:39], v[100:101], v[228:229] neg_lo:[0,1] neg_hi:[0,1]
	.loc	1 67 20 is_stmt 0               ; attention_bwd.py:67:20 @[ attention_bwd.py:200:26 ]
	v_pk_mul_f32 v[38:39], v[200:201], v[38:39]
	.loc	1 68 21 is_stmt 1               ; attention_bwd.py:68:21 @[ attention_bwd.py:200:26 ]
	v_cvt_f16_f32_e32 v1, v39
	v_cvt_f16_f32_e32 v40, v38
	.loc	1 67 26                         ; attention_bwd.py:67:26 @[ attention_bwd.py:200:26 ]
	v_pk_add_f32 v[38:39], v[98:99], v[226:227] neg_lo:[0,1] neg_hi:[0,1]
	.loc	1 67 20 is_stmt 0               ; attention_bwd.py:67:20 @[ attention_bwd.py:200:26 ]
	v_pk_mul_f32 v[38:39], v[198:199], v[38:39]
	.loc	1 68 21 is_stmt 1               ; attention_bwd.py:68:21 @[ attention_bwd.py:200:26 ]
	v_cvt_f16_f32_e32 v39, v39
	v_cvt_f16_f32_e32 v38, v38
	.loc	1 69 26                         ; attention_bwd.py:69:26 @[ attention_bwd.py:200:26 ]
	v_pack_b32_f16 v43, v40, v1
	.loc	1 69 35 is_stmt 0               ; attention_bwd.py:69:35 @[ attention_bwd.py:200:26 ]
	v_xad_u32 v1, v0, 16, 0
	v_mov_b32_e32 v46, v78
	.loc	1 69 26                         ; attention_bwd.py:69:26 @[ attention_bwd.py:200:26 ]
	v_pack_b32_f16 v42, v38, v39
	.loc	1 69 35                         ; attention_bwd.py:69:35 @[ attention_bwd.py:200:26 ]
	ds_read2st64_b64 v[38:41], v1 offset1:4
	v_mov_b32_e32 v47, v79
	.loc	1 69 26                         ; attention_bwd.py:69:26 @[ attention_bwd.py:200:26 ]
	s_waitcnt lgkmcnt(1)
	v_mfma_f32_32x32x8f16 v[18:33], v[34:35], v[42:43], v[18:33]
	.loc	1 67 26 is_stmt 1               ; attention_bwd.py:67:26 @[ attention_bwd.py:200:26 ]
	v_pk_add_f32 v[34:35], v[104:105], v[224:225] neg_lo:[0,1] neg_hi:[0,1]
	.loc	1 67 20 is_stmt 0               ; attention_bwd.py:67:20 @[ attention_bwd.py:200:26 ]
	v_pk_mul_f32 v[34:35], v[196:197], v[34:35]
	.loc	1 68 21 is_stmt 1               ; attention_bwd.py:68:21 @[ attention_bwd.py:200:26 ]
	v_cvt_f16_f32_e32 v1, v35
	v_cvt_f16_f32_e32 v44, v34
	.loc	1 67 26                         ; attention_bwd.py:67:26 @[ attention_bwd.py:200:26 ]
	v_pk_add_f32 v[34:35], v[102:103], v[220:221] neg_lo:[0,1] neg_hi:[0,1]
	.loc	1 67 20 is_stmt 0               ; attention_bwd.py:67:20 @[ attention_bwd.py:200:26 ]
	v_pk_mul_f32 v[34:35], v[194:195], v[34:35]
	.loc	1 68 21 is_stmt 1               ; attention_bwd.py:68:21 @[ attention_bwd.py:200:26 ]
	v_cvt_f16_f32_e32 v35, v35
	v_cvt_f16_f32_e32 v34, v34
	.loc	1 69 26                         ; attention_bwd.py:69:26 @[ attention_bwd.py:200:26 ]
	v_pack_b32_f16 v45, v44, v1
	.loc	1 69 35 is_stmt 0               ; attention_bwd.py:69:35 @[ attention_bwd.py:200:26 ]
	v_xad_u32 v1, v0, 32, 0
	ds_read2st64_b64 v[48:51], v1 offset1:4
	.loc	1 69 26                         ; attention_bwd.py:69:26 @[ attention_bwd.py:200:26 ]
	v_pack_b32_f16 v44, v34, v35
	.loc	1 67 26 is_stmt 1               ; attention_bwd.py:67:26 @[ attention_bwd.py:200:26 ]
	v_pk_add_f32 v[34:35], v[108:109], v[222:223] neg_lo:[0,1] neg_hi:[0,1]
	.loc	1 67 20 is_stmt 0               ; attention_bwd.py:67:20 @[ attention_bwd.py:200:26 ]
	v_pk_mul_f32 v[34:35], v[192:193], v[34:35]
	.loc	1 68 21 is_stmt 1               ; attention_bwd.py:68:21 @[ attention_bwd.py:200:26 ]
	v_cvt_f16_f32_e32 v1, v35
	.loc	1 69 26                         ; attention_bwd.py:69:26 @[ attention_bwd.py:200:26 ]
	v_mfma_f32_32x32x8f16 v[2:17], v[36:37], v[42:43], v[2:17]
	.loc	1 68 21                         ; attention_bwd.py:68:21 @[ attention_bwd.py:200:26 ]
	v_cvt_f16_f32_e32 v34, v34
	.loc	1 69 35                         ; attention_bwd.py:69:35 @[ attention_bwd.py:200:26 ]
	v_xad_u32 v0, v0, 48, 0
	ds_read2st64_b64 v[98:101], v0 offset1:4
	v_mov_b32_e32 v36, v68
	.loc	1 69 26 is_stmt 0               ; attention_bwd.py:69:26 @[ attention_bwd.py:200:26 ]
	v_pack_b32_f16 v53, v34, v1
	v_mov_b32_e32 v37, v69
	v_mov_b32_e32 v42, v74
	;; [unrolled: 1-line block ×10, first 2 shown]
	s_waitcnt lgkmcnt(2)
	v_mfma_f32_32x32x8f16 v[18:33], v[38:39], v[44:45], v[18:33]
	.loc	1 67 26 is_stmt 1               ; attention_bwd.py:67:26 @[ attention_bwd.py:200:26 ]
	v_pk_add_f32 v[38:39], v[106:107], v[218:219] neg_lo:[0,1] neg_hi:[0,1]
	.loc	1 67 20 is_stmt 0               ; attention_bwd.py:67:20 @[ attention_bwd.py:200:26 ]
	v_pk_mul_f32 v[38:39], v[190:191], v[38:39]
	.loc	1 68 21 is_stmt 1               ; attention_bwd.py:68:21 @[ attention_bwd.py:200:26 ]
	v_cvt_f16_f32_e32 v35, v39
	v_cvt_f16_f32_e32 v38, v38
	v_mov_b32_e32 v61, v93
	v_mov_b32_e32 v62, v94
	;; [unrolled: 1-line block ×3, first 2 shown]
	.loc	1 69 26                         ; attention_bwd.py:69:26 @[ attention_bwd.py:200:26 ]
	v_pack_b32_f16 v52, v38, v35
	.loc	1 67 26                         ; attention_bwd.py:67:26 @[ attention_bwd.py:200:26 ]
	v_pk_add_f32 v[34:35], v[112:113], v[216:217] neg_lo:[0,1] neg_hi:[0,1]
	v_pk_add_f32 v[38:39], v[110:111], v[214:215] neg_lo:[0,1] neg_hi:[0,1]
	.loc	1 67 20 is_stmt 0               ; attention_bwd.py:67:20 @[ attention_bwd.py:200:26 ]
	v_pk_mul_f32 v[34:35], v[188:189], v[34:35]
	v_pk_mul_f32 v[38:39], v[120:121], v[38:39]
	.loc	1 68 21 is_stmt 1               ; attention_bwd.py:68:21 @[ attention_bwd.py:200:26 ]
	v_cvt_f16_f32_e32 v0, v35
	v_cvt_f16_f32_e32 v1, v34
	;; [unrolled: 1-line block ×3, first 2 shown]
	.loc	1 69 26                         ; attention_bwd.py:69:26 @[ attention_bwd.py:200:26 ]
	v_mfma_f32_32x32x8f16 v[2:17], v[40:41], v[44:45], v[2:17]
	.loc	1 68 21                         ; attention_bwd.py:68:21 @[ attention_bwd.py:200:26 ]
	v_cvt_f16_f32_e32 v35, v38
	.loc	1 69 26                         ; attention_bwd.py:69:26 @[ attention_bwd.py:200:26 ]
	v_pack_b32_f16 v103, v1, v0
	v_mov_b32_e32 v38, v70
	v_mov_b32_e32 v39, v71
	v_pack_b32_f16 v102, v35, v34
	v_mov_b32_e32 v34, v66
	v_mov_b32_e32 v35, v67
	;; [unrolled: 1-line block ×8, first 2 shown]
	s_waitcnt lgkmcnt(1)
	v_mfma_f32_32x32x8f16 v[18:33], v[48:49], v[52:53], v[18:33]
	v_mov_b32_e32 v48, v80
	v_mov_b32_e32 v49, v81
	v_mfma_f32_32x32x8f16 v[2:17], v[50:51], v[52:53], v[2:17]
	v_mov_b32_e32 v50, v82
	v_mov_b32_e32 v51, v83
	;; [unrolled: 1-line block ×4, first 2 shown]
	s_waitcnt lgkmcnt(0)
	v_mfma_f32_32x32x8f16 v[18:33], v[98:99], v[102:103], v[18:33]
	v_mfma_f32_32x32x8f16 v[2:17], v[100:101], v[102:103], v[2:17]
.Ltmp50:
.LBB0_115:
	.loc	1 165 36                        ; attention_bwd.py:165:36
	v_lshrrev_b32_e32 v0, 1, v183
	.loc	1 153 10                        ; attention_bwd.py:153:10
	s_add_u32 s0, s42, s50
	.loc	1 165 23                        ; attention_bwd.py:165:23
	v_or3_b32 v230, v173, v0, s33
	.loc	1 153 10                        ; attention_bwd.py:153:10
	s_addc_u32 s1, s43, s51
	.loc	1 171 38                        ; attention_bwd.py:171:38
	v_mul_lo_u32 v66, s52, v230
	.loc	1 154 10                        ; attention_bwd.py:154:10
	s_add_u32 s2, s44, s50
	.loc	1 171 69                        ; attention_bwd.py:171:69
	v_mul_lo_u32 v68, s53, v124
	.loc	1 204 19                        ; attention_bwd.py:204:19
	v_ashrrev_i32_e32 v67, 31, v66
	.loc	1 154 10                        ; attention_bwd.py:154:10
	s_addc_u32 s3, s45, s51
	.loc	1 171 69                        ; attention_bwd.py:171:69
	v_mad_u64_u32 v[86:87], s[4:5], s53, 17, v[68:69]
	v_mad_u64_u32 v[88:89], s[4:5], s53, 18, v[68:69]
	.loc	1 205 22                        ; attention_bwd.py:205:22
	v_cvt_f16_f32_e32 v0, v34
	v_cvt_f16_f32_e32 v1, v35
	.loc	1 171 69                        ; attention_bwd.py:171:69
	v_mad_u64_u32 v[34:35], s[4:5], s53, 58, v[68:69]
	.loc	1 204 19                        ; attention_bwd.py:204:19
	v_lshlrev_b64 v[66:67], 1, v[66:67]
	.loc	1 171 69                        ; attention_bwd.py:171:69
	v_mad_u64_u32 v[74:75], s[4:5], s53, 3, v[68:69]
	v_mad_u64_u32 v[78:79], s[4:5], s53, 9, v[68:69]
	;; [unrolled: 1-line block ×20, first 2 shown]
	.loc	1 205 22                        ; attention_bwd.py:205:22
	v_cvt_f16_f32_e32 v87, v36
	v_cvt_f16_f32_e32 v89, v37
	.loc	1 171 69                        ; attention_bwd.py:171:69
	v_mad_u64_u32 v[36:37], s[4:5], s53, 59, v[68:69]
	.loc	1 204 19                        ; attention_bwd.py:204:19
	v_mov_b32_e32 v35, s3
	v_add_co_u32_e32 v147, vcc, s2, v66
	.loc	1 204 50 is_stmt 0              ; attention_bwd.py:204:50
	v_ashrrev_i32_e32 v69, 31, v68
	.loc	1 171 69 is_stmt 1              ; attention_bwd.py:171:69
	v_add_u32_e32 v70, s53, v68
	v_lshl_add_u32 v72, s53, 1, v68
	v_add_u32_e32 v76, s67, v68
	v_add_u32_e32 v84, s60, v68
	;; [unrolled: 1-line block ×5, first 2 shown]
	.loc	1 204 19                        ; attention_bwd.py:204:19
	v_addc_co_u32_e32 v148, vcc, v35, v67, vcc
	.loc	1 204 50 is_stmt 0              ; attention_bwd.py:204:50
	v_lshlrev_b64 v[68:69], 1, v[68:69]
	.loc	1 205 22 is_stmt 1              ; attention_bwd.py:205:22
	v_cvt_f16_f32_e32 v93, v38
	.loc	1 204 50                        ; attention_bwd.py:204:50
	v_add_co_u32_e32 v38, vcc, v147, v68
	v_ashrrev_i32_e32 v71, 31, v70
	.loc	1 205 22                        ; attention_bwd.py:205:22
	v_cvt_f16_f32_e32 v95, v39
	.loc	1 204 50                        ; attention_bwd.py:204:50
	v_addc_co_u32_e32 v39, vcc, v148, v69, vcc
	v_lshlrev_b64 v[70:71], 1, v[70:71]
	.loc	1 205 22                        ; attention_bwd.py:205:22
	v_cvt_f16_f32_e32 v99, v40
	.loc	1 204 50                        ; attention_bwd.py:204:50
	v_add_co_u32_e32 v40, vcc, v147, v70
	v_ashrrev_i32_e32 v73, 31, v72
	.loc	1 205 22                        ; attention_bwd.py:205:22
	v_cvt_f16_f32_e32 v101, v41
	.loc	1 204 50                        ; attention_bwd.py:204:50
	v_addc_co_u32_e32 v41, vcc, v148, v71, vcc
	v_lshlrev_b64 v[72:73], 1, v[72:73]
	.loc	1 205 22                        ; attention_bwd.py:205:22
	;; [unrolled: 10-line block ×5, first 2 shown]
	global_store_short v[38:39], v0, off
	.loc	1 204 50                        ; attention_bwd.py:204:50
	v_add_co_u32_e32 v38, vcc, v147, v78
	v_ashrrev_i32_e32 v81, 31, v80
	v_addc_co_u32_e32 v39, vcc, v148, v79, vcc
	v_lshlrev_b64 v[80:81], 1, v[80:81]
	.loc	1 205 22                        ; attention_bwd.py:205:22
	global_store_short v[40:41], v1, off
	.loc	1 204 50                        ; attention_bwd.py:204:50
	v_add_co_u32_e32 v40, vcc, v147, v80
	v_ashrrev_i32_e32 v83, 31, v82
	v_addc_co_u32_e32 v41, vcc, v148, v81, vcc
	v_lshlrev_b64 v[82:83], 1, v[82:83]
	.loc	1 205 22                        ; attention_bwd.py:205:22
	v_cvt_f16_f32_e32 v116, v48
	.loc	1 204 50                        ; attention_bwd.py:204:50
	v_add_co_u32_e32 v48, vcc, v147, v82
	v_ashrrev_i32_e32 v85, 31, v84
	.loc	1 205 22                        ; attention_bwd.py:205:22
	v_cvt_f16_f32_e32 v118, v49
	.loc	1 204 50                        ; attention_bwd.py:204:50
	v_addc_co_u32_e32 v49, vcc, v148, v83, vcc
	v_lshlrev_b64 v[84:85], 1, v[84:85]
	.loc	1 205 22                        ; attention_bwd.py:205:22
	global_store_short v[42:43], v87, off
	.loc	1 204 50                        ; attention_bwd.py:204:50
	v_add_co_u32_e32 v42, vcc, v147, v84
	v_ashrrev_i32_e32 v87, 31, v86
	v_addc_co_u32_e32 v43, vcc, v148, v85, vcc
	v_lshlrev_b64 v[86:87], 1, v[86:87]
	.loc	1 205 22                        ; attention_bwd.py:205:22
	global_store_short v[44:45], v89, off
	.loc	1 204 50                        ; attention_bwd.py:204:50
	v_add_co_u32_e32 v44, vcc, v147, v86
	v_ashrrev_i32_e32 v89, 31, v88
	v_addc_co_u32_e32 v45, vcc, v148, v87, vcc
	v_lshlrev_b64 v[88:89], 1, v[88:89]
	.loc	1 205 22                        ; attention_bwd.py:205:22
	v_cvt_f16_f32_e32 v119, v50
	.loc	1 204 50                        ; attention_bwd.py:204:50
	v_add_co_u32_e32 v50, vcc, v147, v88
	v_ashrrev_i32_e32 v91, 31, v90
	.loc	1 205 22                        ; attention_bwd.py:205:22
	v_cvt_f16_f32_e32 v124, v51
	.loc	1 204 50                        ; attention_bwd.py:204:50
	v_addc_co_u32_e32 v51, vcc, v148, v89, vcc
	v_lshlrev_b64 v[90:91], 1, v[90:91]
	.loc	1 205 22                        ; attention_bwd.py:205:22
	;; [unrolled: 24-line block ×8, first 2 shown]
	global_store_short v[54:55], v119, off
	.loc	1 204 50                        ; attention_bwd.py:204:50
	v_add_co_u32_e32 v54, vcc, v147, v224
	v_ashrrev_i32_e32 v35, 31, v34
	v_addc_co_u32_e32 v55, vcc, v148, v225, vcc
	v_lshlrev_b64 v[226:227], 1, v[34:35]
	v_add_co_u32_e32 v34, vcc, v147, v226
	v_ashrrev_i32_e32 v37, 31, v36
	v_addc_co_u32_e32 v35, vcc, v148, v227, vcc
	v_lshlrev_b64 v[228:229], 1, v[36:37]
	v_add_co_u32_e32 v36, vcc, v147, v228
	v_addc_co_u32_e32 v37, vcc, v148, v229, vcc
	.loc	1 209 19                        ; attention_bwd.py:209:19
	v_mov_b32_e32 v0, s1
	v_add_co_u32_e32 v1, vcc, s0, v66
	v_addc_co_u32_e32 v0, vcc, v0, v67, vcc
	.loc	1 205 22                        ; attention_bwd.py:205:22
	v_cvt_f16_f32_e32 v64, v64
	v_cvt_f16_f32_e32 v65, v65
	global_store_short v[42:43], v124, off
	global_store_short v[44:45], v125, off
	global_store_short v[56:57], v136, off
	global_store_short v[50:51], v137, off
	global_store_short v[46:47], v138, off
	global_store_short v[58:59], v139, off
	global_store_short v[38:39], v140, off
	global_store_short v[52:53], v141, off
	global_store_short v[60:61], v142, off
	global_store_short v[40:41], v143, off
	global_store_short v[48:49], v144, off
	global_store_short v[62:63], v145, off
	global_store_short v[54:55], v146, off
	global_store_short v[34:35], v64, off
	global_store_short v[36:37], v65, off
	.loc	1 209 50                        ; attention_bwd.py:209:50
	v_add_co_u32_e32 v34, vcc, v1, v68
	v_addc_co_u32_e32 v35, vcc, v0, v69, vcc
	v_add_co_u32_e32 v36, vcc, v1, v70
	v_addc_co_u32_e32 v37, vcc, v0, v71, vcc
	;; [unrolled: 2-line block ×13, first 2 shown]
	.loc	1 210 22                        ; attention_bwd.py:210:22
	v_fma_mixlo_f16 v128, s12, v2, 0
	.loc	1 209 50                        ; attention_bwd.py:209:50
	v_add_co_u32_e32 v2, vcc, v1, v94
	.loc	1 210 22                        ; attention_bwd.py:210:22
	v_fma_mixlo_f16 v129, s12, v3, 0
	.loc	1 209 50                        ; attention_bwd.py:209:50
	v_addc_co_u32_e32 v3, vcc, v0, v95, vcc
	.loc	1 210 22                        ; attention_bwd.py:210:22
	v_fma_mixlo_f16 v130, s12, v4, 0
	.loc	1 209 50                        ; attention_bwd.py:209:50
	v_add_co_u32_e32 v4, vcc, v1, v96
	.loc	1 210 22                        ; attention_bwd.py:210:22
	v_fma_mixlo_f16 v131, s12, v5, 0
	.loc	1 209 50                        ; attention_bwd.py:209:50
	v_addc_co_u32_e32 v5, vcc, v0, v97, vcc
	;; [unrolled: 8-line block ×7, first 2 shown]
	.loc	1 210 22                        ; attention_bwd.py:210:22
	v_fma_mixlo_f16 v142, s12, v16, 0
	.loc	1 209 50                        ; attention_bwd.py:209:50
	v_add_co_u32_e32 v16, vcc, v1, v108
	.loc	1 210 22                        ; attention_bwd.py:210:22
	v_fma_mixlo_f16 v18, s12, v18, 0
	v_fma_mixlo_f16 v143, s12, v17, 0
	.loc	1 209 50                        ; attention_bwd.py:209:50
	v_addc_co_u32_e32 v17, vcc, v0, v109, vcc
	.loc	1 210 22                        ; attention_bwd.py:210:22
	global_store_short v[34:35], v18, off
	.loc	1 209 50                        ; attention_bwd.py:209:50
	v_add_co_u32_e32 v18, vcc, v1, v110
	.loc	1 210 22                        ; attention_bwd.py:210:22
	v_fma_mixlo_f16 v60, s12, v19, 0
	.loc	1 209 50                        ; attention_bwd.py:209:50
	v_addc_co_u32_e32 v19, vcc, v0, v111, vcc
	.loc	1 210 22                        ; attention_bwd.py:210:22
	v_fma_mixlo_f16 v61, s12, v20, 0
	.loc	1 209 50                        ; attention_bwd.py:209:50
	v_add_co_u32_e32 v20, vcc, v1, v112
	.loc	1 210 22                        ; attention_bwd.py:210:22
	v_fma_mixlo_f16 v62, s12, v21, 0
	.loc	1 209 50                        ; attention_bwd.py:209:50
	v_addc_co_u32_e32 v21, vcc, v0, v113, vcc
	.loc	1 210 22                        ; attention_bwd.py:210:22
	v_fma_mixlo_f16 v63, s12, v22, 0
	;; [unrolled: 8-line block ×7, first 2 shown]
	.loc	1 209 50                        ; attention_bwd.py:209:50
	v_add_co_u32_e32 v32, vcc, v1, v222
	.loc	1 210 22                        ; attention_bwd.py:210:22
	v_fma_mixlo_f16 v125, s12, v33, 0
	.loc	1 209 50                        ; attention_bwd.py:209:50
	v_addc_co_u32_e32 v33, vcc, v0, v223, vcc
	v_add_co_u32_e32 v34, vcc, v1, v224
	v_addc_co_u32_e32 v35, vcc, v0, v225, vcc
	.loc	1 210 22                        ; attention_bwd.py:210:22
	global_store_short v[36:37], v60, off
	.loc	1 209 50                        ; attention_bwd.py:209:50
	v_add_co_u32_e32 v36, vcc, v1, v226
	v_addc_co_u32_e32 v37, vcc, v0, v227, vcc
	.loc	1 210 22                        ; attention_bwd.py:210:22
	global_store_short v[38:39], v61, off
	.loc	1 209 50                        ; attention_bwd.py:209:50
	v_add_co_u32_e32 v38, vcc, v1, v228
	v_addc_co_u32_e32 v39, vcc, v0, v229, vcc
	.loc	1 220 20                        ; attention_bwd.py:220:20
	v_mov_b32_e32 v0, s64
	v_add_co_u32_e32 v1, vcc, s63, v176
	v_addc_co_u32_e32 v0, vcc, v0, v177, vcc
	.loc	1 210 22                        ; attention_bwd.py:210:22
	global_store_short v[40:41], v62, off
	global_store_short v[42:43], v63, off
	;; [unrolled: 1-line block ×29, first 2 shown]
	.loc	1 220 20                        ; attention_bwd.py:220:20
	v_mov_b32_e32 v2, s64
	v_add_co_u32_e32 v4, vcc, s63, v178
	v_accvgpr_read_b32 v133, a77
	v_addc_co_u32_e32 v5, vcc, v2, v179, vcc
	v_accvgpr_read_b32 v132, a76
	v_add_co_u32_e32 v6, vcc, s63, v132
	v_accvgpr_read_b32 v137, a81
	v_addc_co_u32_e32 v7, vcc, v2, v133, vcc
	v_accvgpr_read_b32 v136, a80
	v_add_co_u32_e32 v8, vcc, s63, v136
	v_addc_co_u32_e32 v9, vcc, v2, v137, vcc
	v_add_co_u32_e32 v10, vcc, s63, v186
	v_accvgpr_read_b32 v119, a67
	v_addc_co_u32_e32 v11, vcc, v2, v187, vcc
	v_accvgpr_read_b32 v118, a66
	v_add_co_u32_e32 v12, vcc, s63, v118
	v_accvgpr_read_b32 v121, a69
	v_addc_co_u32_e32 v13, vcc, v2, v119, vcc
	v_accvgpr_read_b32 v120, a68
	;; [unrolled: 4-line block ×27, first 2 shown]
	v_add_co_u32_e32 v64, vcc, s63, v196
	v_addc_co_u32_e32 v65, vcc, v2, v197, vcc
	.loc	1 220 51 is_stmt 0              ; attention_bwd.py:220:51
	v_add_co_u32_e32 v2, vcc, v1, v126
	v_addc_co_u32_e32 v3, vcc, v0, v127, vcc
	v_add_co_u32_e32 v4, vcc, v4, v126
	v_addc_co_u32_e32 v5, vcc, v5, v127, vcc
	;; [unrolled: 2-line block ×32, first 2 shown]
	.loc	1 220 16                        ; attention_bwd.py:220:16
	global_load_ushort v114, v[2:3], off
	global_load_ushort v115, v[10:11], off
	s_nop 0
	global_load_ushort v18, v[18:19], off
	s_nop 0
	global_load_ushort v19, v[26:27], off
	s_nop 0
	global_load_ushort v26, v[34:35], off
	global_load_ushort v27, v[42:43], off
	s_nop 0
	global_load_ushort v34, v[50:51], off
	global_load_ushort v35, v[58:59], off
	;; [unrolled: 1-line block ×3, first 2 shown]
	s_nop 0
	global_load_ushort v13, v[12:13], off
	s_nop 0
	global_load_ushort v20, v[20:21], off
	;; [unrolled: 2-line block ×4, first 2 shown]
	global_load_ushort v29, v[44:45], off
	s_nop 0
	global_load_ushort v36, v[52:53], off
	global_load_ushort v37, v[60:61], off
	;; [unrolled: 1-line block ×3, first 2 shown]
	s_nop 0
	global_load_ushort v14, v[14:15], off
	s_nop 0
	global_load_ushort v15, v[22:23], off
	;; [unrolled: 2-line block ×3, first 2 shown]
	global_load_ushort v23, v[38:39], off
	s_nop 0
	global_load_ushort v30, v[46:47], off
	global_load_ushort v31, v[54:55], off
	;; [unrolled: 1-line block ×3, first 2 shown]
	s_nop 0
	global_load_ushort v16, v[16:17], off
	s_nop 0
	global_load_ushort v17, v[8:9], off
	;; [unrolled: 2-line block ×5, first 2 shown]
	global_load_ushort v33, v[40:41], off
	global_load_ushort v39, v[64:65], off
	s_nop 0
	global_load_ushort v40, v[56:57], off
.Ltmp51:
	.loc	1 42 19 is_stmt 1               ; attention_bwd.py:42:19 @[ attention_bwd.py:184:50 ]
	v_mov_b32_e32 v0, s62
	v_add_co_u32_e32 v1, vcc, s61, v176
	v_addc_co_u32_e32 v0, vcc, v0, v177, vcc
	v_mov_b32_e32 v2, s62
	v_add_co_u32_e32 v3, vcc, s61, v178
	v_addc_co_u32_e32 v2, vcc, v2, v179, vcc
	;; [unrolled: 3-line block ×3, first 2 shown]
	v_add_co_u32_e32 v11, vcc, s61, v136
	v_addc_co_u32_e32 v12, vcc, v4, v137, vcc
	.loc	1 42 50 is_stmt 0               ; attention_bwd.py:42:50 @[ attention_bwd.py:184:50 ]
	v_add_co_u32_e32 v8, vcc, v1, v126
	v_addc_co_u32_e32 v9, vcc, v0, v127, vcc
	v_add_co_u32_e32 v6, vcc, v3, v126
	v_addc_co_u32_e32 v7, vcc, v2, v127, vcc
	;; [unrolled: 2-line block ×4, first 2 shown]
.Ltmp52:
	.loc	1 222 22 is_stmt 1              ; attention_bwd.py:222:22
	v_mov_b32_e32 v0, s62
	v_add_co_u32_e32 v1, vcc, s61, v186
	v_addc_co_u32_e32 v0, vcc, v0, v187, vcc
	v_mov_b32_e32 v10, s62
	v_add_co_u32_e32 v12, vcc, s61, v118
	.loc	1 220 16                        ; attention_bwd.py:220:16
	s_waitcnt lgkmcnt(0)
	s_barrier
	s_waitcnt vmcnt(31)
	ds_write_b16 v149, v114
	s_waitcnt vmcnt(30)
	ds_write_b16 v149, v115 offset:2048
	s_waitcnt vmcnt(29)
	ds_write_b16 v149, v18 offset:4096
	;; [unrolled: 2-line block ×24, first 2 shown]
	ds_write_b16 v153, v16 offset:3584
	s_waitcnt vmcnt(4)
	ds_write_b16 v153, v24 offset:5632
	ds_write_b16 v153, v32 offset:7680
	s_waitcnt vmcnt(2)
	ds_write_b16 v153, v33 offset:9728
	ds_write_b16 v153, v25 offset:11776
	s_waitcnt vmcnt(0)
	ds_write_b16 v153, v40 offset:13824
	ds_write_b16 v153, v39 offset:15872
	.loc	1 222 22                        ; attention_bwd.py:222:22
	v_addc_co_u32_e32 v13, vcc, v10, v119, vcc
	v_add_co_u32_e32 v14, vcc, s61, v120
	v_addc_co_u32_e32 v15, vcc, v10, v121, vcc
	v_add_co_u32_e32 v16, vcc, s61, v124
	;; [unrolled: 2-line block ×26, first 2 shown]
	v_addc_co_u32_e32 v65, vcc, v10, v197, vcc
	.loc	1 222 53 is_stmt 0              ; attention_bwd.py:222:53
	v_add_co_u32_e32 v10, vcc, v1, v126
	v_addc_co_u32_e32 v11, vcc, v0, v127, vcc
	v_add_co_u32_e32 v12, vcc, v12, v126
	v_addc_co_u32_e32 v13, vcc, v13, v127, vcc
	;; [unrolled: 2-line block ×27, first 2 shown]
	v_add_co_u32_e32 v64, vcc, v64, v126
	.loc	1 220 16 is_stmt 1              ; attention_bwd.py:220:16
	s_waitcnt lgkmcnt(0)
	s_barrier
	.loc	1 222 53                        ; attention_bwd.py:222:53
	v_addc_co_u32_e32 v65, vcc, v65, v127, vcc
	.loc	1 222 17 is_stmt 0              ; attention_bwd.py:222:17
	global_load_ushort v0, v[8:9], off
	global_load_ushort v1, v[10:11], off
	s_nop 0
	global_load_ushort v8, v[18:19], off
	global_load_ushort v9, v[26:27], off
	;; [unrolled: 1-line block ×4, first 2 shown]
	s_nop 0
	global_load_ushort v18, v[50:51], off
	global_load_ushort v19, v[58:59], off
	s_nop 0
	global_load_ushort v6, v[6:7], off
	s_nop 0
	global_load_ushort v7, v[12:13], off
	s_nop 0
	global_load_ushort v12, v[20:21], off
	global_load_ushort v13, v[28:29], off
	s_nop 0
	global_load_ushort v20, v[36:37], off
	global_load_ushort v21, v[44:45], off
	global_load_ushort v26, v[52:53], off
	global_load_ushort v27, v[60:61], off
	s_nop 0
	global_load_ushort v4, v[4:5], off
	s_nop 0
	global_load_ushort v5, v[14:15], off
	s_nop 0
	global_load_ushort v14, v[22:23], off
	global_load_ushort v15, v[30:31], off
	s_nop 0
	global_load_ushort v22, v[38:39], off
	global_load_ushort v23, v[46:47], off
	;; [unrolled: 12-line block ×3, first 2 shown]
	global_load_ushort v30, v[64:65], off
	global_load_ushort v31, v[56:57], off
	v_accvgpr_read_b32 v51, a131
	v_accvgpr_read_b32 v32, a126
	;; [unrolled: 1-line block ×12, first 2 shown]
	.loc	1 220 16 is_stmt 1              ; attention_bwd.py:220:16
	ds_read_b64 v[176:177], v51
	ds_read_b64 v[178:179], v32
	;; [unrolled: 1-line block ×8, first 2 shown]
	ds_read2st64_b64 v[34:37], v57 offset1:16
	ds_read2st64_b64 v[38:41], v54 offset1:16
	;; [unrolled: 1-line block ×4, first 2 shown]
	.loc	1 222 17                        ; attention_bwd.py:222:17
	s_waitcnt lgkmcnt(0)
	s_barrier
	s_waitcnt vmcnt(31)
	ds_write_b16 v149, v0
	s_waitcnt vmcnt(30)
	ds_write_b16 v149, v1 offset:2048
	s_waitcnt vmcnt(29)
	ds_write_b16 v149, v8 offset:4096
	;; [unrolled: 2-line block ×24, first 2 shown]
	ds_write_b16 v153, v16 offset:3584
	s_waitcnt vmcnt(4)
	ds_write_b16 v153, v17 offset:5632
	ds_write_b16 v153, v3 offset:7680
	s_waitcnt vmcnt(2)
	ds_write_b16 v153, v25 offset:9728
	;; [unrolled: 3-line block ×3, first 2 shown]
	ds_write_b16 v153, v30 offset:15872
	.loc	1 224 20                        ; attention_bwd.py:224:20
	v_ashrrev_i32_e32 v3, 31, v122
	v_mov_b32_e32 v2, v122
	v_lshlrev_b64 v[2:3], 2, v[2:3]
.Ltmp53:
	.loc	1 96 21                         ; attention_bwd.py:96:21 @[ attention_bwd.py:240:70 ]
	v_mov_b32_e32 v0, s56
	v_add_co_u32_e32 v4, vcc, s13, v2
	v_addc_co_u32_e32 v5, vcc, v0, v3, vcc
.Ltmp54:
	.loc	1 224 20                        ; attention_bwd.py:224:20
	v_mov_b32_e32 v0, s58
	v_add_co_u32_e32 v2, vcc, s57, v2
	v_ashrrev_i32_e32 v231, 31, v230
	.loc	1 222 17                        ; attention_bwd.py:222:17
	s_waitcnt lgkmcnt(0)
	s_barrier
.Ltmp55:
	.loc	1 96 17                         ; attention_bwd.py:96:17 @[ attention_bwd.py:240:70 ]
	global_load_dword v120, v[4:5], off
	global_load_dword v126, v[4:5], off offset:256
.Ltmp56:
	.loc	1 224 20                        ; attention_bwd.py:224:20
	v_addc_co_u32_e32 v3, vcc, v0, v3, vcc
	v_lshlrev_b64 v[4:5], 2, v[230:231]
	v_add_co_u32_e32 v6, vcc, s57, v4
	v_addc_co_u32_e32 v7, vcc, v0, v5, vcc
	.loc	1 224 16 is_stmt 0              ; attention_bwd.py:224:16
	global_load_dword v141, v[2:3], off
	global_load_dword v143, v[2:3], off offset:256
	global_load_dword v164, v[6:7], off
.Ltmp57:
	.loc	1 96 21 is_stmt 1               ; attention_bwd.py:96:21 @[ attention_bwd.py:240:70 ]
	v_mov_b32_e32 v0, s56
	v_add_co_u32_e32 v2, vcc, s13, v4
	v_addc_co_u32_e32 v3, vcc, v0, v5, vcc
	.loc	1 96 17 is_stmt 0               ; attention_bwd.py:96:17 @[ attention_bwd.py:240:70 ]
	global_load_dword v118, v[2:3], off
	v_accvgpr_read_b32 v2, a138
	.loc	1 101 25 is_stmt 1              ; attention_bwd.py:101:25 @[ attention_bwd.py:240:70 ]
	v_mov_b32_e32 v0, s11
	v_add_co_u32_e32 v128, vcc, s10, v2
	v_accvgpr_read_b32 v1, a139
	v_addc_co_u32_e32 v119, vcc, v0, v1, vcc
	v_accvgpr_read_b32 v4, a140
	v_add_co_u32_e32 v130, vcc, s10, v4
	v_accvgpr_read_b32 v3, a141
	v_addc_co_u32_e32 v129, vcc, v0, v3, vcc
	v_accvgpr_read_b32 v6, a142
.Ltmp58:
	.loc	1 222 17                        ; attention_bwd.py:222:17
	ds_read_b64 v[192:193], v51
	ds_read_b64 v[194:195], v32
	;; [unrolled: 1-line block ×8, first 2 shown]
	ds_read2st64_b64 v[50:53], v57 offset1:16
.Ltmp59:
	.loc	1 101 25                        ; attention_bwd.py:101:25 @[ attention_bwd.py:240:70 ]
	v_add_co_u32_e32 v132, vcc, s10, v6
	v_accvgpr_read_b32 v5, a143
	v_addc_co_u32_e32 v131, vcc, v0, v5, vcc
	v_accvgpr_read_b32 v8, a144
	v_add_co_u32_e32 v134, vcc, s10, v8
	v_accvgpr_read_b32 v7, a145
	v_addc_co_u32_e32 v133, vcc, v0, v7, vcc
	v_mov_b32_e32 v0, s9
	v_add_co_u32_e32 v136, vcc, s8, v2
	v_addc_co_u32_e32 v125, vcc, v0, v1, vcc
.Ltmp60:
	.loc	1 222 17                        ; attention_bwd.py:222:17
	ds_read2st64_b64 v[54:57], v54 offset1:16
	ds_read2st64_b64 v[58:61], v58 offset1:16
	ds_read2st64_b64 v[62:65], v62 offset1:16
.Ltmp61:
	.loc	1 101 25                        ; attention_bwd.py:101:25 @[ attention_bwd.py:240:70 ]
	v_add_co_u32_e32 v138, vcc, s8, v4
	v_addc_co_u32_e32 v135, vcc, v0, v3, vcc
	v_add_co_u32_e32 v140, vcc, s8, v6
	v_addc_co_u32_e32 v137, vcc, v0, v5, vcc
	v_add_co_u32_e32 v142, vcc, s8, v8
	v_mov_b32_e32 v2, 0
	v_addc_co_u32_e32 v139, vcc, v0, v7, vcc
	s_mov_b32 s19, 0x5040100
	s_mov_b32 s20, 0x7060302
	v_mov_b32_e32 v3, v2
	v_mov_b32_e32 v4, v2
	;; [unrolled: 1-line block ×17, first 2 shown]
	.loc	1 113 23                        ; attention_bwd.py:113:23 @[ attention_bwd.py:240:70 ]
	s_waitcnt vmcnt(5)
	v_mov_b32_e32 v121, v120
	s_waitcnt vmcnt(4)
	v_mov_b32_e32 v127, v126
	v_mov_b32_e32 v20, v2
	;; [unrolled: 1-line block ×15, first 2 shown]
	v_accvgpr_read_b32 v165, a51
	v_accvgpr_read_b32 v238, a52
	;; [unrolled: 1-line block ×4, first 2 shown]
.LBB0_116:                              ; =>This Inner Loop Header: Depth=1
	.loc	1 102 21                        ; attention_bwd.py:102:21 @[ attention_bwd.py:240:70 ]
	v_add_co_u32_e32 v166, vcc, s50, v128
	v_mov_b32_e32 v0, s51
	v_add_co_u32_e64 v150, s[16:17], s50, v142
	v_add_co_u32_e64 v168, s[0:1], s50, v130
	;; [unrolled: 1-line block ×7, first 2 shown]
	v_addc_co_u32_e32 v167, vcc, v119, v0, vcc
	v_addc_co_u32_e64 v151, vcc, v139, v0, s[16:17]
	v_addc_co_u32_e64 v169, vcc, v129, v0, s[0:1]
	;; [unrolled: 1-line block ×7, first 2 shown]
	global_load_ushort v0, v[150:151], off
	global_load_ushort v1, v[148:149], off
	;; [unrolled: 1-line block ×4, first 2 shown]
	.loc	1 117 34                        ; attention_bwd.py:117:34 @[ attention_bwd.py:240:70 ]
	s_waitcnt lgkmcnt(0)
	s_barrier
	.loc	1 102 21                        ; attention_bwd.py:102:21 @[ attention_bwd.py:240:70 ]
	s_add_i32 s0, s33, s18
	v_mov_b32_e32 v161, v175
	v_mov_b32_e32 v160, v152
	.loc	1 101 25                        ; attention_bwd.py:101:25 @[ attention_bwd.py:240:70 ]
	s_add_i32 s18, s18, 16
	s_cmpk_lg_i32 s18, 0x80
	.loc	1 117 34                        ; attention_bwd.py:117:34 @[ attention_bwd.py:240:70 ]
	s_waitcnt vmcnt(1)
	v_perm_b32 v116, v114, v0, s19
	s_waitcnt vmcnt(0)
	v_perm_b32 v124, v115, v1, s19
	ds_write_b32 v242, v116
	ds_write_b32 v243, v124 offset:256
	s_waitcnt lgkmcnt(0)
	s_barrier
	.loc	1 103 21                        ; attention_bwd.py:103:21 @[ attention_bwd.py:240:70 ]
	global_load_ushort v156, v[172:173], off
	global_load_ushort v157, v[170:171], off
	;; [unrolled: 1-line block ×4, first 2 shown]
	.loc	1 117 34                        ; attention_bwd.py:117:34 @[ attention_bwd.py:240:70 ]
	ds_read2st64_b32 v[148:149], v244 offset1:2
	ds_read2st64_b32 v[150:151], v245 offset1:2
	;; [unrolled: 1-line block ×4, first 2 shown]
	.loc	1 102 21                        ; attention_bwd.py:102:21 @[ attention_bwd.py:240:70 ]
	s_waitcnt lgkmcnt(0)
	s_barrier
	ds_write_b16 v162, v0
	ds_write_b16 v162, v1 offset:512
	ds_write_b16 v162, v114 offset:1024
	;; [unrolled: 1-line block ×3, first 2 shown]
	s_waitcnt lgkmcnt(0)
	s_barrier
	ds_read_u16 v0, v163
	ds_read_u16 v1, v163 offset:64
	ds_read_u16 v114, v163 offset:96
	;; [unrolled: 1-line block ×5, first 2 shown]
	.loc	1 117 25                        ; attention_bwd.py:117:25 @[ attention_bwd.py:240:70 ]
	v_perm_b32 v210, v149, v148, s19
	.loc	1 104 23                        ; attention_bwd.py:104:23 @[ attention_bwd.py:240:70 ]
	s_waitcnt lgkmcnt(3)
	v_perm_b32 v171, v114, v1, s19
	s_waitcnt lgkmcnt(2)
	v_perm_b32 v170, v115, v0, s19
	.loc	1 102 21                        ; attention_bwd.py:102:21 @[ attention_bwd.py:240:70 ]
	ds_read_u16 v1, v163 offset:512
	ds_read_u16 v114, v163 offset:576
	;; [unrolled: 1-line block ×3, first 2 shown]
	.loc	1 104 23                        ; attention_bwd.py:104:23 @[ attention_bwd.py:240:70 ]
	v_mfma_f32_16x16x16f16 v[166:169], v[170:171], v[34:35], 0
	.loc	1 108 30                        ; attention_bwd.py:108:30 @[ attention_bwd.py:240:70 ]
	v_or_b32_e32 v0, s0, v175
	.loc	1 104 23                        ; attention_bwd.py:104:23 @[ attention_bwd.py:240:70 ]
	s_waitcnt lgkmcnt(0)
	v_perm_b32 v175, v115, v114, s19
	v_perm_b32 v174, v116, v1, s19
	.loc	1 108 30                        ; attention_bwd.py:108:30 @[ attention_bwd.py:240:70 ]
	v_or_b32_e32 v1, s0, v152
	.loc	1 102 21                        ; attention_bwd.py:102:21 @[ attention_bwd.py:240:70 ]
	ds_read_u16 v116, v163 offset:1024
	ds_read_u16 v124, v163 offset:1088
	;; [unrolled: 1-line block ×3, first 2 shown]
	.loc	1 110 34                        ; attention_bwd.py:110:34 @[ attention_bwd.py:240:70 ]
	v_cmp_ge_i32_e32 vcc, v117, v0
	.loc	1 104 23                        ; attention_bwd.py:104:23 @[ attention_bwd.py:240:70 ]
	v_mfma_f32_16x16x16f16 v[170:173], v[170:171], v[36:37], 0
	.loc	1 110 34                        ; attention_bwd.py:110:34 @[ attention_bwd.py:240:70 ]
	v_cmp_ge_i32_e64 s[2:3], v123, v0
	.loc	1 108 30                        ; attention_bwd.py:108:30 @[ attention_bwd.py:240:70 ]
	v_or_b32_e32 v114, s0, v165
	v_or_b32_e32 v115, s0, v238
	.loc	1 110 34                        ; attention_bwd.py:110:34 @[ attention_bwd.py:240:70 ]
	v_cmp_ge_i32_e64 s[4:5], v122, v1
	v_cmp_ge_i32_e64 s[6:7], v117, v114
	v_cmp_ge_i32_e64 s[0:1], v122, v115
	v_cmp_ge_i32_e64 s[12:13], v240, v1
	.loc	1 104 23                        ; attention_bwd.py:104:23 @[ attention_bwd.py:240:70 ]
	v_mfma_f32_16x16x16f16 v[170:173], v[174:175], v[40:41], v[170:173]
	.loc	1 110 34                        ; attention_bwd.py:110:34 @[ attention_bwd.py:240:70 ]
	v_cmp_ge_i32_e64 s[14:15], v123, v114
	v_cmp_ge_i32_e64 s[16:17], v240, v115
	.loc	1 117 25                        ; attention_bwd.py:117:25 @[ attention_bwd.py:240:70 ]
	v_perm_b32 v211, v151, v150, s19
	v_perm_b32 v148, v149, v148, s20
	;; [unrolled: 1-line block ×3, first 2 shown]
	.loc	1 104 23                        ; attention_bwd.py:104:23 @[ attention_bwd.py:240:70 ]
	v_mfma_f32_16x16x16f16 v[166:169], v[174:175], v[38:39], v[166:169]
	s_waitcnt lgkmcnt(0)
	v_perm_b32 v175, v152, v124, s19
	v_perm_b32 v174, v153, v116, s19
	.loc	1 102 21                        ; attention_bwd.py:102:21 @[ attention_bwd.py:240:70 ]
	ds_read_u16 v0, v163 offset:1536
	ds_read_u16 v116, v163 offset:1600
	;; [unrolled: 1-line block ×4, first 2 shown]
	.loc	1 103 21                        ; attention_bwd.py:103:21 @[ attention_bwd.py:240:70 ]
	s_waitcnt lgkmcnt(0)
	s_barrier
	s_waitcnt vmcnt(3)
	ds_write_b16 v162, v156
	s_waitcnt vmcnt(2)
	ds_write_b16 v162, v157 offset:512
	s_waitcnt vmcnt(1)
	ds_write_b16 v162, v158 offset:1024
	;; [unrolled: 2-line block ×3, first 2 shown]
	.loc	1 104 23                        ; attention_bwd.py:104:23 @[ attention_bwd.py:240:70 ]
	v_mfma_f32_16x16x16f16 v[170:173], v[174:175], v[44:45], v[170:173]
	.loc	1 103 21                        ; attention_bwd.py:103:21 @[ attention_bwd.py:240:70 ]
	s_waitcnt lgkmcnt(0)
	s_barrier
	ds_read_u16 v153, v163
	ds_read_u16 v156, v163 offset:64
	ds_read_u16 v157, v163 offset:96
	;; [unrolled: 1-line block ×4, first 2 shown]
	.loc	1 104 23                        ; attention_bwd.py:104:23 @[ attention_bwd.py:240:70 ]
	v_mfma_f32_16x16x16f16 v[166:169], v[174:175], v[42:43], v[166:169]
	v_perm_b32 v175, v124, v116, s19
	v_perm_b32 v174, v152, v0, s19
	s_nop 1
	v_mfma_f32_16x16x16f16 v[170:173], v[174:175], v[48:49], v[170:173]
	v_mfma_f32_16x16x16f16 v[166:169], v[174:175], v[46:47], v[166:169]
	.loc	1 105 30                        ; attention_bwd.py:105:30 @[ attention_bwd.py:240:70 ]
	s_nop 9
	v_sub_f32_e32 v116, v170, v143
	v_sub_f32_e32 v124, v171, v143
	.loc	1 112 24                        ; attention_bwd.py:112:24 @[ attention_bwd.py:240:70 ]
	s_waitcnt lgkmcnt(2)
	v_perm_b32 v171, v157, v156, s19
	s_waitcnt lgkmcnt(1)
	v_perm_b32 v170, v158, v153, s19
	.loc	1 103 21                        ; attention_bwd.py:103:21 @[ attention_bwd.py:240:70 ]
	ds_read_u16 v156, v163 offset:512
	ds_read_u16 v157, v163 offset:576
	;; [unrolled: 1-line block ×3, first 2 shown]
	.loc	1 105 30                        ; attention_bwd.py:105:30 @[ attention_bwd.py:240:70 ]
	v_sub_f32_e32 v152, v172, v143
	v_sub_f32_e32 v0, v166, v141
	;; [unrolled: 1-line block ×5, first 2 shown]
	.loc	1 112 24                        ; attention_bwd.py:112:24 @[ attention_bwd.py:240:70 ]
	v_mfma_f32_16x16x16f16 v[166:169], v[170:171], v[50:51], 0
	.loc	1 105 30                        ; attention_bwd.py:105:30 @[ attention_bwd.py:240:70 ]
	v_sub_f32_e32 v153, v173, v143
	.loc	1 112 24                        ; attention_bwd.py:112:24 @[ attention_bwd.py:240:70 ]
	s_waitcnt lgkmcnt(0)
	v_perm_b32 v175, v158, v157, s19
	v_perm_b32 v174, v159, v156, s19
	.loc	1 103 21                        ; attention_bwd.py:103:21 @[ attention_bwd.py:240:70 ]
	ds_read_u16 v156, v163 offset:1024
	ds_read_u16 v157, v163 offset:1088
	;; [unrolled: 1-line block ×4, first 2 shown]
	.loc	1 105 25                        ; attention_bwd.py:105:25 @[ attention_bwd.py:240:70 ]
	v_exp_f32_e32 v0, v0
	v_exp_f32_e32 v1, v1
	.loc	1 112 24                        ; attention_bwd.py:112:24 @[ attention_bwd.py:240:70 ]
	v_mfma_f32_16x16x16f16 v[170:173], v[170:171], v[52:53], 0
	.loc	1 105 25                        ; attention_bwd.py:105:25 @[ attention_bwd.py:240:70 ]
	v_exp_f32_e32 v115, v115
	.loc	1 110 34                        ; attention_bwd.py:110:34 @[ attention_bwd.py:240:70 ]
	v_cndmask_b32_e64 v230, 0, v0, s[4:5]
	v_cndmask_b32_e32 v231, 0, v1, vcc
	.loc	1 105 25                        ; attention_bwd.py:105:25 @[ attention_bwd.py:240:70 ]
	v_exp_f32_e32 v114, v114
	.loc	1 110 34                        ; attention_bwd.py:110:34 @[ attention_bwd.py:240:70 ]
	v_cndmask_b32_e64 v233, 0, v115, s[6:7]
	.loc	1 103 21                        ; attention_bwd.py:103:21 @[ attention_bwd.py:240:70 ]
	ds_read_u16 v0, v163 offset:1536
	ds_read_u16 v1, v163 offset:1600
	;; [unrolled: 1-line block ×3, first 2 shown]
	.loc	1 105 25                        ; attention_bwd.py:105:25 @[ attention_bwd.py:240:70 ]
	v_exp_f32_e32 v116, v116
	.loc	1 112 24                        ; attention_bwd.py:112:24 @[ attention_bwd.py:240:70 ]
	v_mfma_f32_16x16x16f16 v[166:169], v[174:175], v[54:55], v[166:169]
	.loc	1 105 25                        ; attention_bwd.py:105:25 @[ attention_bwd.py:240:70 ]
	v_exp_f32_e32 v124, v124
	v_exp_f32_e32 v152, v152
	;; [unrolled: 1-line block ×3, first 2 shown]
	.loc	1 110 34                        ; attention_bwd.py:110:34 @[ attention_bwd.py:240:70 ]
	v_cndmask_b32_e64 v232, 0, v114, s[0:1]
	v_cndmask_b32_e64 v235, 0, v124, s[2:3]
	v_cndmask_b32_e64 v234, 0, v116, s[12:13]
	v_cndmask_b32_e64 v237, 0, v153, s[14:15]
	.loc	1 112 24                        ; attention_bwd.py:112:24 @[ attention_bwd.py:240:70 ]
	v_mfma_f32_16x16x16f16 v[170:173], v[174:175], v[56:57], v[170:173]
	s_waitcnt lgkmcnt(4)
	v_perm_b32 v175, v158, v157, s19
	s_waitcnt lgkmcnt(3)
	v_perm_b32 v174, v159, v156, s19
	.loc	1 103 21                        ; attention_bwd.py:103:21 @[ attention_bwd.py:240:70 ]
	ds_read_u16 v156, v163 offset:1568
	.loc	1 110 34                        ; attention_bwd.py:110:34 @[ attention_bwd.py:240:70 ]
	v_cndmask_b32_e64 v236, 0, v152, s[16:17]
	.loc	1 114 19                        ; attention_bwd.py:114:19 @[ attention_bwd.py:240:70 ]
	s_waitcnt lgkmcnt(0)
	s_barrier
	.loc	1 101 25                        ; attention_bwd.py:101:25 @[ attention_bwd.py:240:70 ]
	v_add_co_u32_e32 v128, vcc, s46, v128
	.loc	1 112 24                        ; attention_bwd.py:112:24 @[ attention_bwd.py:240:70 ]
	v_mfma_f32_16x16x16f16 v[166:169], v[174:175], v[58:59], v[166:169]
	.loc	1 101 25                        ; attention_bwd.py:101:25 @[ attention_bwd.py:240:70 ]
	v_add_co_u32_e64 v130, s[0:1], s46, v130
	v_add_co_u32_e64 v132, s[2:3], s46, v132
	;; [unrolled: 1-line block ×4, first 2 shown]
	.loc	1 112 24                        ; attention_bwd.py:112:24 @[ attention_bwd.py:240:70 ]
	v_mfma_f32_16x16x16f16 v[170:173], v[174:175], v[60:61], v[170:173]
	v_perm_b32 v175, v115, v1, s19
	v_perm_b32 v174, v156, v0, s19
	.loc	1 101 25                        ; attention_bwd.py:101:25 @[ attention_bwd.py:240:70 ]
	v_add_co_u32_e64 v138, s[12:13], s46, v138
	v_add_co_u32_e64 v140, s[14:15], s46, v140
	;; [unrolled: 1-line block ×3, first 2 shown]
	.loc	1 112 24                        ; attention_bwd.py:112:24 @[ attention_bwd.py:240:70 ]
	v_mfma_f32_16x16x16f16 v[166:169], v[174:175], v[62:63], v[166:169]
	v_mfma_f32_16x16x16f16 v[170:173], v[174:175], v[64:65], v[170:173]
	v_mov_b32_e32 v175, v161
	.loc	1 113 23                        ; attention_bwd.py:113:23 @[ attention_bwd.py:240:70 ]
	s_nop 8
	v_pk_add_f32 v[166:167], v[166:167], v[120:121] neg_lo:[0,1] neg_hi:[0,1]
	v_pk_add_f32 v[168:169], v[168:169], v[120:121] neg_lo:[0,1] neg_hi:[0,1]
	.loc	1 113 18 is_stmt 0              ; attention_bwd.py:113:18 @[ attention_bwd.py:240:70 ]
	v_pk_mul_f32 v[166:167], v[230:231], v[166:167]
	v_pk_mul_f32 v[168:169], v[232:233], v[168:169]
	.loc	1 114 19 is_stmt 1              ; attention_bwd.py:114:19 @[ attention_bwd.py:240:70 ]
	v_cvt_f16_f32_e32 v0, v167
	v_cvt_f16_f32_e32 v1, v166
	;; [unrolled: 1-line block ×4, first 2 shown]
	.loc	1 113 23                        ; attention_bwd.py:113:23 @[ attention_bwd.py:240:70 ]
	v_pk_add_f32 v[170:171], v[170:171], v[126:127] neg_lo:[0,1] neg_hi:[0,1]
	v_pk_add_f32 v[172:173], v[172:173], v[126:127] neg_lo:[0,1] neg_hi:[0,1]
	.loc	1 113 18 is_stmt 0              ; attention_bwd.py:113:18 @[ attention_bwd.py:240:70 ]
	v_pk_mul_f32 v[170:171], v[234:235], v[170:171]
	v_pk_mul_f32 v[172:173], v[236:237], v[172:173]
	.loc	1 114 19 is_stmt 1              ; attention_bwd.py:114:19 @[ attention_bwd.py:240:70 ]
	v_cvt_f16_f32_e32 v116, v171
	v_cvt_f16_f32_e32 v124, v173
	;; [unrolled: 1-line block ×4, first 2 shown]
	v_pack_b32_f16 v167, v115, v114
	v_pack_b32_f16 v166, v1, v0
	v_pack_b32_f16 v169, v152, v124
	v_pack_b32_f16 v168, v153, v116
	ds_write2st64_b64 v203, v[166:167], v[168:169] offset1:4
	s_waitcnt lgkmcnt(0)
	s_barrier
	ds_read_b64 v[0:1], v154
	ds_read_b64 v[114:115], v155
	.loc	1 117 25                        ; attention_bwd.py:117:25 @[ attention_bwd.py:240:70 ]
	s_waitcnt lgkmcnt(1)
	v_mfma_f32_32x32x8f16 v[2:17], v[210:211], v[0:1], v[2:17]
	v_mov_b32_e32 v152, v160
	v_mfma_f32_32x32x8f16 v[18:33], v[148:149], v[0:1], v[18:33]
	v_perm_b32 v148, v145, v144, s19
	v_perm_b32 v149, v147, v146, s19
	;; [unrolled: 1-line block ×4, first 2 shown]
	.loc	1 101 25                        ; attention_bwd.py:101:25 @[ attention_bwd.py:240:70 ]
	v_mov_b32_e32 v0, s47
	v_addc_co_u32_e32 v119, vcc, v119, v0, vcc
	v_addc_co_u32_e64 v129, vcc, v129, v0, s[0:1]
	v_addc_co_u32_e64 v131, vcc, v131, v0, s[2:3]
	;; [unrolled: 1-line block ×4, first 2 shown]
	.loc	1 117 25                        ; attention_bwd.py:117:25 @[ attention_bwd.py:240:70 ]
	s_waitcnt lgkmcnt(0)
	v_mfma_f32_32x32x8f16 v[2:17], v[148:149], v[114:115], v[2:17]
	.loc	1 101 25                        ; attention_bwd.py:101:25 @[ attention_bwd.py:240:70 ]
	v_addc_co_u32_e64 v135, vcc, v135, v0, s[12:13]
	v_addc_co_u32_e64 v137, vcc, v137, v0, s[14:15]
	;; [unrolled: 1-line block ×3, first 2 shown]
	.loc	1 117 25                        ; attention_bwd.py:117:25 @[ attention_bwd.py:240:70 ]
	v_mfma_f32_32x32x8f16 v[18:33], v[144:145], v[114:115], v[18:33]
	.loc	1 101 25                        ; attention_bwd.py:101:25 @[ attention_bwd.py:240:70 ]
	s_cbranch_scc1 .LBB0_116
.Ltmp62:
; %bb.117:
	.loc	1 245 29                        ; attention_bwd.py:245:29
	s_ashr_i32 s33, s33, 5
.Ltmp63:
	.loc	1 101 25                        ; attention_bwd.py:101:25 @[ attention_bwd.py:253:40 ]
	s_cmp_lt_i32 s33, 1
	s_cbranch_scc1 .LBB0_120
; %bb.118:                              ; %.lr.ph737
	.loc	1 0 25 is_stmt 0                ; attention_bwd.py:0:25
	v_accvgpr_read_b32 v0, a53
	.loc	1 93 36 is_stmt 1               ; attention_bwd.py:93:36 @[ attention_bwd.py:253:40 ]
	v_mul_lo_u32 v34, s52, v0
	v_lshlrev_b32_e32 v0, 5, v248
	v_lshl_or_b32 v0, v241, 4, v0
	v_accvgpr_read_b32 v1, a60
	v_or3_b32 v36, v254, v0, v1
	v_and_b32_e32 v0, 0x3a0, v249
	v_accvgpr_read_b32 v1, a48
	.loc	1 93 18 is_stmt 0               ; attention_bwd.py:93:18 @[ attention_bwd.py:253:40 ]
	v_ashrrev_i32_e32 v35, 31, v34
	v_and_or_b32 v0, v1, 28, v0
	v_accvgpr_read_b32 v1, a59
	v_or3_b32 v40, v0, v239, v1
	.loc	1 101 25 is_stmt 1              ; attention_bwd.py:101:25 @[ attention_bwd.py:253:40 ]
	v_lshlrev_b64 v[34:35], 1, v[34:35]
	v_accvgpr_read_b32 v0, a172
	v_accvgpr_read_b32 v1, a173
	v_add_co_u32_e32 v48, vcc, v0, v34
	v_addc_co_u32_e32 v49, vcc, v1, v35, vcc
	v_mov_b32_e32 v1, s11
	v_add_co_u32_e32 v0, vcc, s10, v48
	v_addc_co_u32_e32 v1, vcc, v1, v49, vcc
	v_accvgpr_read_b32 v50, a170
	v_accvgpr_read_b32 v51, a171
	v_add_co_u32_e32 v50, vcc, v50, v34
	v_addc_co_u32_e32 v51, vcc, v51, v35, vcc
	v_mov_b32_e32 v52, s11
	v_add_co_u32_e32 v114, vcc, s10, v50
	v_addc_co_u32_e32 v115, vcc, v52, v51, vcc
	;; [unrolled: 7-line block ×6, first 2 shown]
	v_add_co_u32_e32 v60, vcc, v252, v34
	v_addc_co_u32_e32 v61, vcc, v253, v35, vcc
	v_mov_b32_e32 v62, s11
	v_add_co_u32_e32 v126, vcc, s10, v60
	v_addc_co_u32_e32 v127, vcc, v62, v61, vcc
	v_add_co_u32_e32 v34, vcc, v34, v250
	v_addc_co_u32_e32 v35, vcc, v35, v251, vcc
	;; [unrolled: 2-line block ×3, first 2 shown]
	v_mov_b32_e32 v62, s9
	v_add_co_u32_e32 v130, vcc, s8, v48
	v_addc_co_u32_e32 v131, vcc, v62, v49, vcc
	v_mov_b32_e32 v48, s9
	v_add_co_u32_e32 v132, vcc, s8, v50
	v_addc_co_u32_e32 v133, vcc, v48, v51, vcc
	v_add_co_u32_e32 v134, vcc, s8, v52
	v_addc_co_u32_e32 v135, vcc, v48, v53, vcc
	;; [unrolled: 2-line block ×6, first 2 shown]
	v_xor_b32_e32 v37, 8, v36
	v_xor_b32_e32 v38, 16, v36
	;; [unrolled: 1-line block ×10, first 2 shown]
	s_ashr_i32 s49, s48, 31
	v_add_co_u32_e32 v144, vcc, s8, v34
	.loc	1 113 23                        ; attention_bwd.py:113:23 @[ attention_bwd.py:253:40 ]
	v_mov_b32_e32 v119, v118
	.loc	1 101 25                        ; attention_bwd.py:101:25 @[ attention_bwd.py:253:40 ]
	s_lshl_b64 s[30:31], s[48:49], 1
	v_addc_co_u32_e32 v145, vcc, v48, v35, vcc
	s_mov_b32 s34, 0x5040100
	v_add_u32_e32 v163, 0, v36
	v_add_u32_e32 v165, 0, v37
	;; [unrolled: 1-line block ×12, first 2 shown]
	s_mov_b32 s35, 0x7060302
.LBB0_119:                              ; =>This Inner Loop Header: Depth=1
	.loc	1 102 21                        ; attention_bwd.py:102:21 @[ attention_bwd.py:253:40 ]
	v_mov_b32_e32 v63, s51
	v_add_co_u32_e32 v34, vcc, s50, v114
	v_add_co_u32_e64 v36, s[0:1], s50, v116
	v_add_co_u32_e64 v38, s[2:3], s50, v120
	;; [unrolled: 1-line block ×15, first 2 shown]
	v_addc_co_u32_e64 v65, s[28:29], v1, v63, s[28:29]
	v_addc_co_u32_e32 v35, vcc, v115, v63, vcc
	v_addc_co_u32_e64 v37, vcc, v117, v63, s[0:1]
	v_addc_co_u32_e64 v39, vcc, v121, v63, s[2:3]
	;; [unrolled: 1-line block ×14, first 2 shown]
	global_load_ushort v62, v[62:63], off
	s_nop 0
	global_load_ushort v60, v[60:61], off
	s_nop 0
	global_load_ushort v58, v[58:59], off
	s_nop 0
	global_load_ushort v56, v[56:57], off
	s_nop 0
	global_load_ushort v54, v[54:55], off
	s_nop 0
	global_load_ushort v52, v[52:53], off
	s_nop 0
	global_load_ushort v50, v[50:51], off
	s_nop 0
	global_load_ushort v48, v[48:49], off
	.loc	1 117 34                        ; attention_bwd.py:117:34 @[ attention_bwd.py:253:40 ]
	s_waitcnt lgkmcnt(0)
	s_barrier
	.loc	1 101 25                        ; attention_bwd.py:101:25 @[ attention_bwd.py:253:40 ]
	v_add_co_u32_e64 v114, s[8:9], s30, v114
	v_add_co_u32_e32 v116, vcc, s30, v116
	v_add_co_u32_e64 v120, s[0:1], s30, v120
	v_add_co_u32_e64 v122, s[2:3], s30, v122
	;; [unrolled: 1-line block ×13, first 2 shown]
	s_add_i32 s33, s33, -1
	v_add_co_u32_e64 v0, s[28:29], s30, v0
	s_cmp_lg_u32 s33, 0
	.loc	1 117 34                        ; attention_bwd.py:117:34 @[ attention_bwd.py:253:40 ]
	s_waitcnt vmcnt(3)
	v_perm_b32 v49, v54, v62, s34
	s_waitcnt vmcnt(2)
	v_perm_b32 v51, v52, v60, s34
	;; [unrolled: 2-line block ×4, first 2 shown]
	ds_write_b32 v163, v49
	ds_write_b32 v165, v51 offset:256
	ds_write_b32 v166, v53 offset:512
	;; [unrolled: 1-line block ×3, first 2 shown]
	s_waitcnt lgkmcnt(0)
	s_barrier
	ds_read2st64_b32 v[158:159], v168 offset1:4
	ds_read2st64_b32 v[160:161], v169 offset1:4
	;; [unrolled: 1-line block ×8, first 2 shown]
	.loc	1 103 21                        ; attention_bwd.py:103:21 @[ attention_bwd.py:253:40 ]
	global_load_ushort v61, v[46:47], off
	global_load_ushort v63, v[44:45], off
	global_load_ushort v210, v[42:43], off
	global_load_ushort v211, v[40:41], off
	global_load_ushort v237, v[38:39], off
	global_load_ushort v238, v[36:37], off
	global_load_ushort v239, v[34:35], off
	s_nop 0
	global_load_ushort v64, v[64:65], off
	.loc	1 102 21                        ; attention_bwd.py:102:21 @[ attention_bwd.py:253:40 ]
	s_waitcnt lgkmcnt(0)
	s_barrier
	ds_write_b16 v162, v62
	ds_write_b16 v162, v60 offset:512
	ds_write_b16 v162, v58 offset:1024
	;; [unrolled: 1-line block ×7, first 2 shown]
	s_waitcnt lgkmcnt(0)
	s_barrier
	ds_read_u16 v34, v202
	ds_read_u16 v35, v202 offset:64
	ds_read_u16 v36, v202 offset:128
	;; [unrolled: 1-line block ×7, first 2 shown]
	.loc	1 104 23                        ; attention_bwd.py:104:23 @[ attention_bwd.py:253:40 ]
	s_waitcnt lgkmcnt(4)
	v_perm_b32 v51, v37, v36, s34
	v_perm_b32 v50, v35, v34, s34
	.loc	1 102 21                        ; attention_bwd.py:102:21 @[ attention_bwd.py:253:40 ]
	ds_read_u16 v235, v202 offset:3712
	ds_read_u16 v236, v202 offset:3776
	.loc	1 104 23                        ; attention_bwd.py:104:23 @[ attention_bwd.py:253:40 ]
	v_mfma_f32_32x32x8f16 v[34:49], v[50:51], v[176:177], 0
	s_waitcnt lgkmcnt(2)
	v_perm_b32 v51, v55, v54, s34
	v_perm_b32 v50, v53, v52, s34
	s_nop 1
	v_mfma_f32_32x32x8f16 v[34:49], v[50:51], v[178:179], v[34:49]
	.loc	1 102 21                        ; attention_bwd.py:102:21 @[ attention_bwd.py:253:40 ]
	ds_read_u16 v50, v202 offset:1024
	ds_read_u16 v52, v202 offset:1088
	;; [unrolled: 1-line block ×8, first 2 shown]
	.loc	1 104 23                        ; attention_bwd.py:104:23 @[ attention_bwd.py:253:40 ]
	s_waitcnt lgkmcnt(4)
	v_perm_b32 v51, v53, v51, s34
	v_perm_b32 v50, v52, v50, s34
	.loc	1 102 21                        ; attention_bwd.py:102:21 @[ attention_bwd.py:253:40 ]
	ds_read_u16 v52, v202 offset:2048
	ds_read_u16 v53, v202 offset:2112
	;; [unrolled: 1-line block ×5, first 2 shown]
	.loc	1 104 23                        ; attention_bwd.py:104:23 @[ attention_bwd.py:253:40 ]
	v_mfma_f32_32x32x8f16 v[34:49], v[50:51], v[180:181], v[34:49]
	s_waitcnt lgkmcnt(5)
	v_perm_b32 v51, v57, v56, s34
	v_perm_b32 v50, v55, v54, s34
	.loc	1 102 21                        ; attention_bwd.py:102:21 @[ attention_bwd.py:253:40 ]
	ds_read_u16 v54, v202 offset:2624
	ds_read_u16 v55, v202 offset:2688
	;; [unrolled: 1-line block ×9, first 2 shown]
	.loc	1 103 21                        ; attention_bwd.py:103:21 @[ attention_bwd.py:253:40 ]
	s_waitcnt lgkmcnt(0)
	s_barrier
	s_waitcnt vmcnt(7)
	ds_write_b16 v162, v61
	s_waitcnt vmcnt(6)
	ds_write_b16 v162, v63 offset:512
	s_waitcnt vmcnt(5)
	ds_write_b16 v162, v210 offset:1024
	;; [unrolled: 2-line block ×7, first 2 shown]
	.loc	1 104 23                        ; attention_bwd.py:104:23 @[ attention_bwd.py:253:40 ]
	v_mfma_f32_32x32x8f16 v[34:49], v[50:51], v[182:183], v[34:49]
	v_perm_b32 v51, v59, v58, s34
	v_perm_b32 v50, v53, v52, s34
	.loc	1 103 21                        ; attention_bwd.py:103:21 @[ attention_bwd.py:253:40 ]
	s_waitcnt lgkmcnt(0)
	s_barrier
	.loc	1 104 23                        ; attention_bwd.py:104:23 @[ attention_bwd.py:253:40 ]
	v_mfma_f32_32x32x8f16 v[34:49], v[50:51], v[184:185], v[34:49]
	v_perm_b32 v51, v56, v55, s34
	v_perm_b32 v50, v54, v60, s34
	s_nop 1
	v_mfma_f32_32x32x8f16 v[34:49], v[50:51], v[186:187], v[34:49]
	.loc	1 103 21                        ; attention_bwd.py:103:21 @[ attention_bwd.py:253:40 ]
	ds_read_u16 v50, v202
	ds_read_u16 v51, v202 offset:64
	ds_read_u16 v52, v202 offset:128
	;; [unrolled: 1-line block ×7, first 2 shown]
	.loc	1 112 24                        ; attention_bwd.py:112:24 @[ attention_bwd.py:253:40 ]
	s_waitcnt lgkmcnt(4)
	v_perm_b32 v211, v53, v52, s34
	v_perm_b32 v210, v51, v50, s34
	s_nop 1
	v_mfma_f32_32x32x8f16 v[50:65], v[210:211], v[192:193], 0
	.loc	1 104 23                        ; attention_bwd.py:104:23 @[ attention_bwd.py:253:40 ]
	v_perm_b32 v211, v232, v231, s34
	v_perm_b32 v210, v230, v203, s34
	s_nop 1
	v_mfma_f32_32x32x8f16 v[34:49], v[210:211], v[188:189], v[34:49]
	.loc	1 112 24                        ; attention_bwd.py:112:24 @[ attention_bwd.py:253:40 ]
	s_waitcnt lgkmcnt(0)
	v_perm_b32 v211, v240, v239, s34
	v_perm_b32 v210, v238, v237, s34
	s_nop 1
	v_mfma_f32_32x32x8f16 v[50:65], v[210:211], v[194:195], v[50:65]
	.loc	1 104 23                        ; attention_bwd.py:104:23 @[ attention_bwd.py:253:40 ]
	v_perm_b32 v211, v236, v235, s34
	v_perm_b32 v210, v234, v233, s34
	s_nop 1
	v_mfma_f32_32x32x8f16 v[34:49], v[210:211], v[190:191], v[34:49]
	.loc	1 103 21                        ; attention_bwd.py:103:21 @[ attention_bwd.py:253:40 ]
	ds_read_u16 v203, v202 offset:1024
	ds_read_u16 v210, v202 offset:1088
	;; [unrolled: 1-line block ×8, first 2 shown]
	.loc	1 112 24                        ; attention_bwd.py:112:24 @[ attention_bwd.py:253:40 ]
	s_waitcnt lgkmcnt(4)
	v_perm_b32 v211, v230, v211, s34
	v_perm_b32 v210, v210, v203, s34
	.loc	1 101 25                        ; attention_bwd.py:101:25 @[ attention_bwd.py:253:40 ]
	v_mov_b32_e32 v203, s31
	v_addc_co_u32_e64 v1, s[28:29], v1, v203, s[28:29]
	v_addc_co_u32_e64 v115, s[8:9], v115, v203, s[8:9]
	v_addc_co_u32_e32 v117, vcc, v117, v203, vcc
	v_addc_co_u32_e64 v121, vcc, v121, v203, s[0:1]
	v_addc_co_u32_e64 v123, vcc, v123, v203, s[2:3]
	;; [unrolled: 1-line block ×3, first 2 shown]
	.loc	1 112 24                        ; attention_bwd.py:112:24 @[ attention_bwd.py:253:40 ]
	v_mfma_f32_32x32x8f16 v[50:65], v[210:211], v[196:197], v[50:65]
	s_waitcnt lgkmcnt(0)
	v_perm_b32 v211, v234, v233, s34
	v_perm_b32 v210, v232, v231, s34
	.loc	1 105 30                        ; attention_bwd.py:105:30 @[ attention_bwd.py:253:40 ]
	v_sub_f32_e32 v34, v34, v164
	v_sub_f32_e32 v35, v35, v164
	;; [unrolled: 1-line block ×4, first 2 shown]
	.loc	1 105 25 is_stmt 0              ; attention_bwd.py:105:25 @[ attention_bwd.py:253:40 ]
	v_exp_f32_e32 v34, v34
	v_exp_f32_e32 v35, v35
	;; [unrolled: 1-line block ×4, first 2 shown]
	.loc	1 105 30                        ; attention_bwd.py:105:30 @[ attention_bwd.py:253:40 ]
	v_sub_f32_e32 v38, v38, v164
	v_sub_f32_e32 v39, v39, v164
	;; [unrolled: 1-line block ×4, first 2 shown]
	.loc	1 105 25                        ; attention_bwd.py:105:25 @[ attention_bwd.py:253:40 ]
	v_exp_f32_e32 v38, v38
	.loc	1 112 24 is_stmt 1              ; attention_bwd.py:112:24 @[ attention_bwd.py:253:40 ]
	v_mfma_f32_32x32x8f16 v[50:65], v[210:211], v[198:199], v[50:65]
	.loc	1 103 21                        ; attention_bwd.py:103:21 @[ attention_bwd.py:253:40 ]
	ds_read_u16 v210, v202 offset:2048
	ds_read_u16 v230, v202 offset:2112
	;; [unrolled: 1-line block ×8, first 2 shown]
	.loc	1 112 24                        ; attention_bwd.py:112:24 @[ attention_bwd.py:253:40 ]
	s_waitcnt lgkmcnt(4)
	v_perm_b32 v211, v231, v211, s34
	v_perm_b32 v210, v230, v210, s34
	.loc	1 105 25                        ; attention_bwd.py:105:25 @[ attention_bwd.py:253:40 ]
	v_exp_f32_e32 v39, v39
	.loc	1 101 25                        ; attention_bwd.py:101:25 @[ attention_bwd.py:253:40 ]
	v_addc_co_u32_e64 v127, vcc, v127, v203, s[6:7]
	v_addc_co_u32_e64 v129, vcc, v129, v203, s[10:11]
	;; [unrolled: 1-line block ×6, first 2 shown]
	.loc	1 112 24                        ; attention_bwd.py:112:24 @[ attention_bwd.py:253:40 ]
	v_mfma_f32_32x32x8f16 v[50:65], v[210:211], v[200:201], v[50:65]
	s_waitcnt lgkmcnt(0)
	v_perm_b32 v211, v235, v234, s34
	v_perm_b32 v210, v233, v232, s34
	.loc	1 101 25                        ; attention_bwd.py:101:25 @[ attention_bwd.py:253:40 ]
	v_addc_co_u32_e64 v139, vcc, v139, v203, s[20:21]
	v_addc_co_u32_e64 v141, vcc, v141, v203, s[22:23]
	;; [unrolled: 1-line block ×4, first 2 shown]
	.loc	1 112 24                        ; attention_bwd.py:112:24 @[ attention_bwd.py:253:40 ]
	v_mfma_f32_32x32x8f16 v[50:65], v[210:211], v[204:205], v[50:65]
	.loc	1 103 21                        ; attention_bwd.py:103:21 @[ attention_bwd.py:253:40 ]
	ds_read_u16 v210, v202 offset:3072
	ds_read_u16 v230, v202 offset:3136
	;; [unrolled: 1-line block ×8, first 2 shown]
	.loc	1 112 24                        ; attention_bwd.py:112:24 @[ attention_bwd.py:253:40 ]
	s_waitcnt lgkmcnt(4)
	v_perm_b32 v211, v231, v211, s34
	v_perm_b32 v210, v230, v210, s34
	s_waitcnt lgkmcnt(2)
	v_perm_b32 v230, v233, v232, s34
	s_waitcnt lgkmcnt(0)
	v_perm_b32 v231, v235, v234, s34
	v_mfma_f32_32x32x8f16 v[50:65], v[210:211], v[206:207], v[50:65]
	.loc	1 117 25                        ; attention_bwd.py:117:25 @[ attention_bwd.py:253:40 ]
	v_perm_b32 v210, v159, v158, s34
	v_perm_b32 v211, v161, v160, s34
	.loc	1 112 24                        ; attention_bwd.py:112:24 @[ attention_bwd.py:253:40 ]
	v_mfma_f32_32x32x8f16 v[50:65], v[230:231], v[208:209], v[50:65]
	.loc	1 113 23                        ; attention_bwd.py:113:23 @[ attention_bwd.py:253:40 ]
	s_nop 15
	s_nop 2
	v_pk_add_f32 v[50:51], v[50:51], v[118:119] neg_lo:[0,1] neg_hi:[0,1]
	v_pk_add_f32 v[52:53], v[52:53], v[118:119] neg_lo:[0,1] neg_hi:[0,1]
	.loc	1 113 18 is_stmt 0              ; attention_bwd.py:113:18 @[ attention_bwd.py:253:40 ]
	v_pk_mul_f32 v[34:35], v[34:35], v[50:51]
	v_pk_mul_f32 v[36:37], v[36:37], v[52:53]
	.loc	1 114 19 is_stmt 1              ; attention_bwd.py:114:19 @[ attention_bwd.py:253:40 ]
	v_cvt_f16_f32_e32 v50, v35
	v_cvt_f16_f32_e32 v35, v37
	;; [unrolled: 1-line block ×4, first 2 shown]
	.loc	1 117 25                        ; attention_bwd.py:117:25 @[ attention_bwd.py:253:40 ]
	v_perm_b32 v51, v161, v160, s35
	v_perm_b32 v37, v157, v156, s34
	v_pack_b32_f16 v35, v36, v35
	v_pack_b32_f16 v34, v34, v50
	v_perm_b32 v50, v159, v158, s35
	v_perm_b32 v36, v155, v154, s34
	v_mfma_f32_32x32x8f16 v[2:17], v[210:211], v[34:35], v[2:17]
	v_mfma_f32_32x32x8f16 v[18:33], v[50:51], v[34:35], v[18:33]
	.loc	1 105 25                        ; attention_bwd.py:105:25 @[ attention_bwd.py:253:40 ]
	v_exp_f32_e32 v34, v40
	v_exp_f32_e32 v35, v41
	.loc	1 113 23                        ; attention_bwd.py:113:23 @[ attention_bwd.py:253:40 ]
	v_pk_add_f32 v[40:41], v[54:55], v[118:119] neg_lo:[0,1] neg_hi:[0,1]
	v_pk_add_f32 v[50:51], v[56:57], v[118:119] neg_lo:[0,1] neg_hi:[0,1]
	.loc	1 113 18 is_stmt 0              ; attention_bwd.py:113:18 @[ attention_bwd.py:253:40 ]
	v_pk_mul_f32 v[38:39], v[38:39], v[40:41]
	v_pk_mul_f32 v[34:35], v[34:35], v[50:51]
	.loc	1 114 19 is_stmt 1              ; attention_bwd.py:114:19 @[ attention_bwd.py:253:40 ]
	v_cvt_f16_f32_e32 v39, v39
	v_cvt_f16_f32_e32 v35, v35
	;; [unrolled: 1-line block ×4, first 2 shown]
	.loc	1 105 30                        ; attention_bwd.py:105:30 @[ attention_bwd.py:253:40 ]
	v_sub_f32_e32 v40, v42, v164
	v_sub_f32_e32 v41, v43, v164
	.loc	1 117 25                        ; attention_bwd.py:117:25 @[ attention_bwd.py:253:40 ]
	v_pack_b32_f16 v35, v34, v35
	v_pack_b32_f16 v34, v38, v39
	v_perm_b32 v38, v155, v154, s35
	v_perm_b32 v39, v157, v156, s35
	v_mfma_f32_32x32x8f16 v[2:17], v[36:37], v[34:35], v[2:17]
	.loc	1 105 30                        ; attention_bwd.py:105:30 @[ attention_bwd.py:253:40 ]
	v_sub_f32_e32 v42, v44, v164
	v_sub_f32_e32 v43, v45, v164
	.loc	1 105 25 is_stmt 0              ; attention_bwd.py:105:25 @[ attention_bwd.py:253:40 ]
	v_exp_f32_e32 v40, v40
	v_exp_f32_e32 v41, v41
	.loc	1 117 25 is_stmt 1              ; attention_bwd.py:117:25 @[ attention_bwd.py:253:40 ]
	v_perm_b32 v36, v151, v150, s34
	v_perm_b32 v37, v153, v152, s34
	v_mfma_f32_32x32x8f16 v[18:33], v[38:39], v[34:35], v[18:33]
	.loc	1 105 25                        ; attention_bwd.py:105:25 @[ attention_bwd.py:253:40 ]
	v_exp_f32_e32 v34, v42
	v_exp_f32_e32 v35, v43
	.loc	1 113 23                        ; attention_bwd.py:113:23 @[ attention_bwd.py:253:40 ]
	v_pk_add_f32 v[38:39], v[58:59], v[118:119] neg_lo:[0,1] neg_hi:[0,1]
	v_pk_add_f32 v[42:43], v[60:61], v[118:119] neg_lo:[0,1] neg_hi:[0,1]
	.loc	1 113 18 is_stmt 0              ; attention_bwd.py:113:18 @[ attention_bwd.py:253:40 ]
	v_pk_mul_f32 v[38:39], v[40:41], v[38:39]
	v_pk_mul_f32 v[34:35], v[34:35], v[42:43]
	.loc	1 114 19 is_stmt 1              ; attention_bwd.py:114:19 @[ attention_bwd.py:253:40 ]
	v_cvt_f16_f32_e32 v39, v39
	v_cvt_f16_f32_e32 v35, v35
	;; [unrolled: 1-line block ×4, first 2 shown]
	.loc	1 105 30                        ; attention_bwd.py:105:30 @[ attention_bwd.py:253:40 ]
	v_sub_f32_e32 v40, v46, v164
	v_sub_f32_e32 v41, v47, v164
	.loc	1 117 25                        ; attention_bwd.py:117:25 @[ attention_bwd.py:253:40 ]
	v_pack_b32_f16 v35, v34, v35
	v_pack_b32_f16 v34, v38, v39
	v_perm_b32 v38, v151, v150, s35
	v_perm_b32 v39, v153, v152, s35
	v_mfma_f32_32x32x8f16 v[2:17], v[36:37], v[34:35], v[2:17]
	.loc	1 105 30                        ; attention_bwd.py:105:30 @[ attention_bwd.py:253:40 ]
	v_sub_f32_e32 v42, v48, v164
	v_sub_f32_e32 v43, v49, v164
	.loc	1 105 25 is_stmt 0              ; attention_bwd.py:105:25 @[ attention_bwd.py:253:40 ]
	v_exp_f32_e32 v40, v40
	v_exp_f32_e32 v41, v41
	.loc	1 117 25 is_stmt 1              ; attention_bwd.py:117:25 @[ attention_bwd.py:253:40 ]
	v_perm_b32 v36, v147, v146, s34
	v_perm_b32 v37, v149, v148, s34
	v_mfma_f32_32x32x8f16 v[18:33], v[38:39], v[34:35], v[18:33]
	.loc	1 105 25                        ; attention_bwd.py:105:25 @[ attention_bwd.py:253:40 ]
	v_exp_f32_e32 v34, v42
	v_exp_f32_e32 v35, v43
	.loc	1 113 23                        ; attention_bwd.py:113:23 @[ attention_bwd.py:253:40 ]
	v_pk_add_f32 v[38:39], v[62:63], v[118:119] neg_lo:[0,1] neg_hi:[0,1]
	v_pk_add_f32 v[42:43], v[64:65], v[118:119] neg_lo:[0,1] neg_hi:[0,1]
	.loc	1 113 18 is_stmt 0              ; attention_bwd.py:113:18 @[ attention_bwd.py:253:40 ]
	v_pk_mul_f32 v[38:39], v[40:41], v[38:39]
	v_pk_mul_f32 v[34:35], v[34:35], v[42:43]
	.loc	1 114 19 is_stmt 1              ; attention_bwd.py:114:19 @[ attention_bwd.py:253:40 ]
	v_cvt_f16_f32_e32 v39, v39
	v_cvt_f16_f32_e32 v35, v35
	;; [unrolled: 1-line block ×4, first 2 shown]
	.loc	1 117 25                        ; attention_bwd.py:117:25 @[ attention_bwd.py:253:40 ]
	v_pack_b32_f16 v35, v34, v35
	v_pack_b32_f16 v34, v38, v39
	s_nop 1
	v_mfma_f32_32x32x8f16 v[2:17], v[36:37], v[34:35], v[2:17]
	v_perm_b32 v36, v147, v146, s35
	v_perm_b32 v37, v149, v148, s35
	s_nop 1
	v_mfma_f32_32x32x8f16 v[18:33], v[36:37], v[34:35], v[18:33]
	.loc	1 101 25                        ; attention_bwd.py:101:25 @[ attention_bwd.py:253:40 ]
	s_cbranch_scc1 .LBB0_119
.Ltmp64:
.LBB0_120:                              ; %._crit_edge738
	.loc	1 152 10                        ; attention_bwd.py:152:10
	s_add_u32 s0, s40, s50
	s_addc_u32 s1, s41, s51
	.loc	1 257 19                        ; attention_bwd.py:257:19
	v_mov_b32_e32 v0, s1
	v_add_co_u32_e32 v114, vcc, s0, v66
	v_addc_co_u32_e32 v115, vcc, v0, v67, vcc
	.loc	1 257 50 is_stmt 0              ; attention_bwd.py:257:50
	v_add_co_u32_e32 v0, vcc, v114, v68
	v_addc_co_u32_e32 v1, vcc, v115, v69, vcc
	v_add_co_u32_e32 v34, vcc, v114, v70
	v_addc_co_u32_e32 v35, vcc, v115, v71, vcc
	;; [unrolled: 2-line block ×31, first 2 shown]
	s_mov_b32 s0, 0x3f317218
	v_add_co_u32_e32 v94, vcc, v114, v228
	.loc	1 259 22 is_stmt 1              ; attention_bwd.py:259:22
	v_fma_mixlo_f16 v2, v2, s0, 0
	.loc	1 257 50                        ; attention_bwd.py:257:50
	v_addc_co_u32_e32 v95, vcc, v115, v229, vcc
	.loc	1 259 22                        ; attention_bwd.py:259:22
	v_fma_mixlo_f16 v3, v3, s0, 0
	v_fma_mixlo_f16 v4, v4, s0, 0
	v_fma_mixlo_f16 v5, v5, s0, 0
	v_fma_mixlo_f16 v6, v6, s0, 0
	v_fma_mixlo_f16 v7, v7, s0, 0
	v_fma_mixlo_f16 v8, v8, s0, 0
	v_fma_mixlo_f16 v9, v9, s0, 0
	v_fma_mixlo_f16 v10, v10, s0, 0
	v_fma_mixlo_f16 v11, v11, s0, 0
	v_fma_mixlo_f16 v12, v12, s0, 0
	v_fma_mixlo_f16 v13, v13, s0, 0
	v_fma_mixlo_f16 v14, v14, s0, 0
	v_fma_mixlo_f16 v15, v15, s0, 0
	v_fma_mixlo_f16 v16, v16, s0, 0
	v_fma_mixlo_f16 v17, v17, s0, 0
	v_fma_mixlo_f16 v18, v18, s0, 0
	v_fma_mixlo_f16 v19, v19, s0, 0
	v_fma_mixlo_f16 v20, v20, s0, 0
	v_fma_mixlo_f16 v21, v21, s0, 0
	v_fma_mixlo_f16 v22, v22, s0, 0
	v_fma_mixlo_f16 v23, v23, s0, 0
	v_fma_mixlo_f16 v24, v24, s0, 0
	v_fma_mixlo_f16 v25, v25, s0, 0
	v_fma_mixlo_f16 v26, v26, s0, 0
	v_fma_mixlo_f16 v27, v27, s0, 0
	v_fma_mixlo_f16 v28, v28, s0, 0
	v_fma_mixlo_f16 v29, v29, s0, 0
	v_fma_mixlo_f16 v30, v30, s0, 0
	v_fma_mixlo_f16 v31, v31, s0, 0
	v_fma_mixlo_f16 v32, v32, s0, 0
	v_fma_mixlo_f16 v33, v33, s0, 0
	global_store_short v[0:1], v2, off
	global_store_short v[34:35], v3, off
	;; [unrolled: 1-line block ×32, first 2 shown]
	.loc	1 259 4 is_stmt 0               ; attention_bwd.py:259:4
	s_endpgm
.Ltmp65:
	.section	.rodata,"a",@progbits
	.p2align	6, 0x0
	.amdhsa_kernel _attn_bwd
		.amdhsa_group_segment_fixed_size 0
		.amdhsa_private_segment_fixed_size 0
		.amdhsa_kernarg_size 120
		.amdhsa_user_sgpr_count 16
		.amdhsa_user_sgpr_private_segment_buffer 1
		.amdhsa_user_sgpr_dispatch_ptr 0
		.amdhsa_user_sgpr_queue_ptr 0
		.amdhsa_user_sgpr_kernarg_segment_ptr 1
		.amdhsa_user_sgpr_dispatch_id 0
		.amdhsa_user_sgpr_flat_scratch_init 0
		.amdhsa_user_sgpr_kernarg_preload_length 10
		.amdhsa_user_sgpr_kernarg_preload_offset 0
		.amdhsa_user_sgpr_private_segment_size 0
		.amdhsa_uses_dynamic_stack 0
		.amdhsa_system_sgpr_private_segment_wavefront_offset 0
		.amdhsa_system_sgpr_workgroup_id_x 1
		.amdhsa_system_sgpr_workgroup_id_y 0
		.amdhsa_system_sgpr_workgroup_id_z 1
		.amdhsa_system_sgpr_workgroup_info 0
		.amdhsa_system_vgpr_workitem_id 0
		.amdhsa_next_free_vgpr 447
		.amdhsa_next_free_sgpr 71
		.amdhsa_accum_offset 256
		.amdhsa_reserve_vcc 1
		.amdhsa_reserve_flat_scratch 0
		.amdhsa_reserve_xnack_mask 1
		.amdhsa_float_round_mode_32 0
		.amdhsa_float_round_mode_16_64 0
		.amdhsa_float_denorm_mode_32 3
		.amdhsa_float_denorm_mode_16_64 3
		.amdhsa_dx10_clamp 1
		.amdhsa_ieee_mode 1
		.amdhsa_fp16_overflow 0
		.amdhsa_tg_split 0
		.amdhsa_exception_fp_ieee_invalid_op 0
		.amdhsa_exception_fp_denorm_src 0
		.amdhsa_exception_fp_ieee_div_zero 0
		.amdhsa_exception_fp_ieee_overflow 0
		.amdhsa_exception_fp_ieee_underflow 0
		.amdhsa_exception_fp_ieee_inexact 0
		.amdhsa_exception_int_div_zero 0
	.end_amdhsa_kernel
	.text
.Lfunc_end0:
	.size	_attn_bwd, .Lfunc_end0-_attn_bwd
	.cfi_endproc
                                        ; -- End function
	.set _attn_bwd.num_vgpr, 256
	.set _attn_bwd.num_agpr, 191
	.set _attn_bwd.numbered_sgpr, 71
	.set _attn_bwd.num_named_barrier, 0
	.set _attn_bwd.private_seg_size, 0
	.set _attn_bwd.uses_vcc, 1
	.set _attn_bwd.uses_flat_scratch, 0
	.set _attn_bwd.has_dyn_sized_stack, 0
	.set _attn_bwd.has_recursion, 0
	.set _attn_bwd.has_indirect_call, 0
	.section	.AMDGPU.csdata,"",@progbits
; Kernel info:
; codeLenInByte = 32316
; TotalNumSgprs: 75
; NumVgprs: 256
; NumAgprs: 191
; TotalNumVgprs: 447
; ScratchSize: 0
; MemoryBound: 0
; FloatMode: 240
; IeeeMode: 1
; LDSByteSize: 0 bytes/workgroup (compile time only)
; SGPRBlocks: 9
; VGPRBlocks: 55
; NumSGPRsForWavesPerEU: 75
; NumVGPRsForWavesPerEU: 447
; AccumOffset: 256
; Occupancy: 1
; WaveLimiterHint : 1
; COMPUTE_PGM_RSRC2:SCRATCH_EN: 0
; COMPUTE_PGM_RSRC2:USER_SGPR: 16
; COMPUTE_PGM_RSRC2:TRAP_HANDLER: 0
; COMPUTE_PGM_RSRC2:TGID_X_EN: 1
; COMPUTE_PGM_RSRC2:TGID_Y_EN: 0
; COMPUTE_PGM_RSRC2:TGID_Z_EN: 1
; COMPUTE_PGM_RSRC2:TIDIG_COMP_CNT: 0
; COMPUTE_PGM_RSRC3_GFX90A:ACCUM_OFFSET: 63
; COMPUTE_PGM_RSRC3_GFX90A:TG_SPLIT: 0
	.text
	.p2alignl 6, 3212836864
	.fill 256, 4, 3212836864
	.section	.AMDGPU.gpr_maximums,"",@progbits
	.set amdgpu.max_num_vgpr, 0
	.set amdgpu.max_num_agpr, 0
	.set amdgpu.max_num_sgpr, 0
	.set amdgpu.max_num_named_barrier, 0
	.text
	.section	.debug_abbrev,"",@progbits
	.byte	1                               ; Abbreviation Code
	.byte	17                              ; DW_TAG_compile_unit
	.byte	1                               ; DW_CHILDREN_yes
	.byte	37                              ; DW_AT_producer
	.byte	14                              ; DW_FORM_strp
	.byte	19                              ; DW_AT_language
	.byte	5                               ; DW_FORM_data2
	.byte	3                               ; DW_AT_name
	.byte	14                              ; DW_FORM_strp
	.byte	16                              ; DW_AT_stmt_list
	.byte	23                              ; DW_FORM_sec_offset
	.byte	27                              ; DW_AT_comp_dir
	.byte	14                              ; DW_FORM_strp
	.byte	17                              ; DW_AT_low_pc
	.byte	1                               ; DW_FORM_addr
	.byte	18                              ; DW_AT_high_pc
	.byte	6                               ; DW_FORM_data4
	.byte	0                               ; EOM(1)
	.byte	0                               ; EOM(2)
	.byte	2                               ; Abbreviation Code
	.byte	46                              ; DW_TAG_subprogram
	.byte	0                               ; DW_CHILDREN_no
	.byte	3                               ; DW_AT_name
	.byte	14                              ; DW_FORM_strp
	.byte	32                              ; DW_AT_inline
	.byte	11                              ; DW_FORM_data1
	.byte	0                               ; EOM(1)
	.byte	0                               ; EOM(2)
	.byte	3                               ; Abbreviation Code
	.byte	46                              ; DW_TAG_subprogram
	.byte	1                               ; DW_CHILDREN_yes
	.byte	17                              ; DW_AT_low_pc
	.byte	1                               ; DW_FORM_addr
	.byte	18                              ; DW_AT_high_pc
	.byte	6                               ; DW_FORM_data4
	.byte	49                              ; DW_AT_abstract_origin
	.byte	19                              ; DW_FORM_ref4
	.byte	0                               ; EOM(1)
	.byte	0                               ; EOM(2)
	.byte	4                               ; Abbreviation Code
	.byte	29                              ; DW_TAG_inlined_subroutine
	.byte	0                               ; DW_CHILDREN_no
	.byte	49                              ; DW_AT_abstract_origin
	.byte	19                              ; DW_FORM_ref4
	.byte	85                              ; DW_AT_ranges
	.byte	23                              ; DW_FORM_sec_offset
	.byte	88                              ; DW_AT_call_file
	.byte	11                              ; DW_FORM_data1
	.byte	89                              ; DW_AT_call_line
	.byte	11                              ; DW_FORM_data1
	.byte	87                              ; DW_AT_call_column
	.byte	11                              ; DW_FORM_data1
	.byte	0                               ; EOM(1)
	.byte	0                               ; EOM(2)
	.byte	5                               ; Abbreviation Code
	.byte	29                              ; DW_TAG_inlined_subroutine
	.byte	0                               ; DW_CHILDREN_no
	.byte	49                              ; DW_AT_abstract_origin
	.byte	19                              ; DW_FORM_ref4
	.byte	17                              ; DW_AT_low_pc
	.byte	1                               ; DW_FORM_addr
	.byte	18                              ; DW_AT_high_pc
	.byte	6                               ; DW_FORM_data4
	.byte	88                              ; DW_AT_call_file
	.byte	11                              ; DW_FORM_data1
	.byte	89                              ; DW_AT_call_line
	.byte	11                              ; DW_FORM_data1
	.byte	87                              ; DW_AT_call_column
	.byte	11                              ; DW_FORM_data1
	.byte	0                               ; EOM(1)
	.byte	0                               ; EOM(2)
	;; [unrolled: 1-line block ×3, first 2 shown]
	.section	.debug_info,"",@progbits
.Lcu_begin0:
	.long	.Ldebug_info_end0-.Ldebug_info_start0 ; Length of Unit
.Ldebug_info_start0:
	.short	4                               ; DWARF version number
	.long	.debug_abbrev                   ; Offset Into Abbrev. Section
	.byte	8                               ; Address Size (in bytes)
	.byte	1                               ; Abbrev [1] 0xb:0x70 DW_TAG_compile_unit
	.long	.Linfo_string0                  ; DW_AT_producer
	.short	2                               ; DW_AT_language
	.long	.Linfo_string1                  ; DW_AT_name
	.long	.Lline_table_start0             ; DW_AT_stmt_list
	.long	.Linfo_string2                  ; DW_AT_comp_dir
	.quad	.Lfunc_begin0                   ; DW_AT_low_pc
	.long	.Lfunc_end0-.Lfunc_begin0       ; DW_AT_high_pc
	.byte	2                               ; Abbrev [2] 0x2a:0x6 DW_TAG_subprogram
	.long	.Linfo_string3                  ; DW_AT_name
	.byte	1                               ; DW_AT_inline
	.byte	3                               ; Abbrev [3] 0x30:0x4a DW_TAG_subprogram
	.quad	.Lfunc_begin0                   ; DW_AT_low_pc
	.long	.Lfunc_end0-.Lfunc_begin0       ; DW_AT_high_pc
	.long	42                              ; DW_AT_abstract_origin
	.byte	4                               ; Abbrev [4] 0x41:0xc DW_TAG_inlined_subroutine
	.long	42                              ; DW_AT_abstract_origin
	.long	.Ldebug_ranges0                 ; DW_AT_ranges
	.byte	1                               ; DW_AT_call_file
	.byte	184                             ; DW_AT_call_line
	.byte	50                              ; DW_AT_call_column
	.byte	4                               ; Abbrev [4] 0x4d:0xc DW_TAG_inlined_subroutine
	.long	42                              ; DW_AT_abstract_origin
	.long	.Ldebug_ranges1                 ; DW_AT_ranges
	.byte	1                               ; DW_AT_call_file
	.byte	200                             ; DW_AT_call_line
	.byte	26                              ; DW_AT_call_column
	;; [unrolled: 6-line block ×3, first 2 shown]
	.byte	5                               ; Abbrev [5] 0x65:0x14 DW_TAG_inlined_subroutine
	.long	42                              ; DW_AT_abstract_origin
	.quad	.Ltmp63                         ; DW_AT_low_pc
	.long	.Ltmp64-.Ltmp63                 ; DW_AT_high_pc
	.byte	1                               ; DW_AT_call_file
	.byte	253                             ; DW_AT_call_line
	.byte	40                              ; DW_AT_call_column
	.byte	0                               ; End Of Children Mark
	.byte	0                               ; End Of Children Mark
.Ldebug_info_end0:
	.section	.debug_ranges,"",@progbits
.Ldebug_ranges0:
	.quad	.Ltmp2-.Lfunc_begin0
	.quad	.Ltmp3-.Lfunc_begin0
	;; [unrolled: 1-line block ×38, first 2 shown]
	.quad	0
	.quad	0
.Ldebug_ranges1:
	.quad	.Ltmp26-.Lfunc_begin0
	.quad	.Ltmp27-.Lfunc_begin0
	;; [unrolled: 1-line block ×18, first 2 shown]
	.quad	0
	.quad	0
.Ldebug_ranges2:
	.quad	.Ltmp53-.Lfunc_begin0
	.quad	.Ltmp54-.Lfunc_begin0
	;; [unrolled: 1-line block ×10, first 2 shown]
	.quad	0
	.quad	0
	.section	.debug_str,"MS",@progbits,1
.Linfo_string0:
	.asciz	"triton"                        ; string offset=0
.Linfo_string1:
	.asciz	"attention_bwd.py"              ; string offset=7
.Linfo_string2:
	.asciz	"/root/src/amdgpu-assembly/repos/triton-lang__triton-aot" ; string offset=24
.Linfo_string3:
	.asciz	"_attn_bwd"                     ; string offset=80
	.section	".note.GNU-stack","",@progbits
	.amdgpu_metadata
---
amdhsa.kernels:
  - .agpr_count:     191
    .args:
      - .address_space:  global
        .offset:         0
        .size:           8
        .value_kind:     global_buffer
      - .address_space:  global
        .offset:         8
        .size:           8
        .value_kind:     global_buffer
      - .address_space:  global
        .offset:         16
        .size:           8
        .value_kind:     global_buffer
      - .offset:         24
        .size:           4
        .value_kind:     by_value
      - .address_space:  global
        .offset:         32
        .size:           8
        .value_kind:     global_buffer
      - .address_space:  global
        .offset:         40
        .size:           8
        .value_kind:     global_buffer
      - .address_space:  global
        .offset:         48
        .size:           8
        .value_kind:     global_buffer
      - .address_space:  global
        .offset:         56
        .size:           8
        .value_kind:     global_buffer
      - .address_space:  global
        .offset:         64
        .size:           8
        .value_kind:     global_buffer
      - .address_space:  global
        .offset:         72
        .size:           8
        .value_kind:     global_buffer
      - .offset:         80
        .size:           4
        .value_kind:     by_value
      - .offset:         84
        .size:           4
        .value_kind:     by_value
      - .offset:         88
        .size:           4
        .value_kind:     by_value
      - .offset:         92
        .size:           4
        .value_kind:     by_value
      - .offset:         96
        .size:           4
        .value_kind:     by_value
      - .offset:         100
        .size:           4
        .value_kind:     by_value
      - .address_space:  global
        .offset:         104
        .size:           8
        .value_kind:     global_buffer
      - .address_space:  global
        .offset:         112
        .size:           8
        .value_kind:     global_buffer
    .group_segment_fixed_size: 0
    .kernarg_segment_align: 8
    .kernarg_segment_size: 120
    .max_flat_workgroup_size: 256
    .name:           _attn_bwd
    .private_segment_fixed_size: 0
    .sgpr_count:     75
    .sgpr_spill_count: 0
    .symbol:         _attn_bwd.kd
    .uniform_work_group_size: 1
    .uses_dynamic_stack: false
    .vgpr_count:     447
    .vgpr_spill_count: 0
    .wavefront_size: 64
amdhsa.target:   amdgcn-amd-amdhsa--gfx90a
amdhsa.version:
  - 1
  - 2
...

	.end_amdgpu_metadata
	.section	.debug_line,"",@progbits
.Lline_table_start0:
